;; amdgpu-corpus repo=ROCm/rocFFT kind=compiled arch=gfx950 opt=O3
	.text
	.amdgcn_target "amdgcn-amd-amdhsa--gfx950"
	.amdhsa_code_object_version 6
	.protected	bluestein_single_back_len756_dim1_sp_op_CI_CI ; -- Begin function bluestein_single_back_len756_dim1_sp_op_CI_CI
	.globl	bluestein_single_back_len756_dim1_sp_op_CI_CI
	.p2align	8
	.type	bluestein_single_back_len756_dim1_sp_op_CI_CI,@function
bluestein_single_back_len756_dim1_sp_op_CI_CI: ; @bluestein_single_back_len756_dim1_sp_op_CI_CI
; %bb.0:
	s_load_dwordx4 s[12:15], s[0:1], 0x28
	v_mul_u32_u24_e32 v1, 0x411, v0
	v_add_u32_sdwa v110, s2, v1 dst_sel:DWORD dst_unused:UNUSED_PAD src0_sel:DWORD src1_sel:WORD_1
	v_mov_b32_e32 v111, 0
	s_waitcnt lgkmcnt(0)
	v_cmp_gt_u64_e32 vcc, s[12:13], v[110:111]
	s_and_saveexec_b64 s[2:3], vcc
	s_cbranch_execz .LBB0_12
; %bb.1:
	s_load_dwordx4 s[4:7], s[0:1], 0x18
	s_load_dwordx4 s[8:11], s[0:1], 0x0
	v_mov_b32_e32 v2, s14
	v_mov_b32_e32 v3, s15
	;; [unrolled: 1-line block ×3, first 2 shown]
	s_waitcnt lgkmcnt(0)
	s_load_dwordx4 s[12:15], s[4:5], 0x0
	v_mul_lo_u16_sdwa v1, v1, v4 dst_sel:DWORD dst_unused:UNUSED_PAD src0_sel:WORD_1 src1_sel:DWORD
	v_sub_u16_e32 v114, v0, v1
	v_mov_b32_e32 v26, 0xbd0
	v_mov_b32_e32 v24, 0xfffff628
	s_waitcnt lgkmcnt(0)
	v_mad_u64_u32 v[0:1], s[2:3], s14, v110, 0
	v_mov_b32_e32 v4, v1
	v_mad_u64_u32 v[4:5], s[2:3], s15, v110, v[4:5]
	v_mov_b32_e32 v1, v4
	v_mad_u64_u32 v[4:5], s[2:3], s12, v114, 0
	v_mov_b32_e32 v6, v5
	v_mad_u64_u32 v[6:7], s[2:3], s13, v114, v[6:7]
	v_mov_b32_e32 v5, v6
	v_lshl_add_u64 v[0:1], v[0:1], 3, v[2:3]
	v_lshl_add_u64 v[0:1], v[4:5], 3, v[0:1]
	global_load_dwordx2 v[2:3], v[0:1], off
	v_mad_u64_u32 v[0:1], s[2:3], s12, v26, v[0:1]
	s_mul_i32 s4, s13, 0xbd0
	v_add_u32_e32 v1, s4, v1
	global_load_dwordx2 v[6:7], v[0:1], off
	v_mad_u64_u32 v[0:1], s[2:3], s12, v24, v[0:1]
	s_mul_i32 s2, s13, 0xfffff628
	s_sub_i32 s5, s2, s12
	v_add_u32_e32 v1, s5, v1
	v_mad_u64_u32 v[8:9], s[2:3], s12, v26, v[0:1]
	v_lshlrev_b32_e32 v96, 3, v114
	v_add_u32_e32 v9, s4, v9
	global_load_dwordx2 v[124:125], v96, s[8:9]
	global_load_dwordx2 v[118:119], v96, s[8:9] offset:504
	global_load_dwordx2 v[122:123], v96, s[8:9] offset:3024
	;; [unrolled: 1-line block ×3, first 2 shown]
	global_load_dwordx2 v[10:11], v[0:1], off
	v_mad_u64_u32 v[0:1], s[2:3], s12, v24, v[8:9]
	v_add_u32_e32 v1, s5, v1
	global_load_dwordx2 v[12:13], v[8:9], off
	global_load_dwordx2 v[14:15], v[0:1], off
	v_mad_u64_u32 v[0:1], s[2:3], s12, v26, v[0:1]
	v_add_u32_e32 v1, s4, v1
	global_load_dwordx2 v[8:9], v[0:1], off
	global_load_dwordx2 v[106:107], v96, s[8:9] offset:4032
	v_mad_u64_u32 v[0:1], s[2:3], s12, v24, v[0:1]
	v_add_u32_e32 v1, s5, v1
	v_mov_b32_e32 v97, v111
	global_load_dwordx2 v[120:121], v96, s[8:9] offset:1008
	global_load_dwordx2 v[16:17], v[0:1], off
	global_load_dwordx2 v[108:109], v96, s[8:9] offset:1512
	v_mad_u64_u32 v[0:1], s[2:3], s12, v26, v[0:1]
	v_lshl_add_u64 v[4:5], s[8:9], 0, v[96:97]
	v_add_u32_e32 v1, s4, v1
	s_movk_i32 s2, 0x1000
	global_load_dwordx2 v[18:19], v[0:1], off
	v_add_co_u32_e32 v4, vcc, s2, v4
	v_mad_u64_u32 v[0:1], s[2:3], s12, v24, v[0:1]
	s_nop 0
	v_addc_co_u32_e32 v5, vcc, 0, v5, vcc
	v_add_u32_e32 v1, s5, v1
	global_load_dwordx2 v[112:113], v[4:5], off offset:440
	global_load_dwordx2 v[20:21], v[0:1], off
	global_load_dwordx2 v[104:105], v96, s[8:9] offset:2016
	v_mad_u64_u32 v[0:1], s[2:3], s12, v26, v[0:1]
	v_add_u32_e32 v1, s4, v1
	global_load_dwordx2 v[22:23], v[0:1], off
	global_load_dwordx2 v[102:103], v[4:5], off offset:944
	v_mad_u64_u32 v[0:1], s[2:3], s12, v24, v[0:1]
	v_add_u32_e32 v1, s5, v1
	global_load_dwordx2 v[24:25], v[0:1], off
	global_load_dwordx2 v[100:101], v96, s[8:9] offset:2520
	v_mad_u64_u32 v[0:1], s[2:3], s12, v26, v[0:1]
	v_add_u32_e32 v1, s4, v1
	global_load_dwordx2 v[98:99], v[4:5], off offset:1448
	global_load_dwordx2 v[26:27], v[0:1], off
	v_add_u32_e32 v50, 0x800, v96
	v_add_u32_e32 v51, 0x1000, v96
	;; [unrolled: 1-line block ×3, first 2 shown]
	s_load_dwordx4 s[4:7], s[6:7], 0x0
	v_add_u32_e32 v49, 0xc00, v96
	s_mov_b32 s2, 0
	v_mov_b32_e32 v115, s2
	s_mov_b64 s[2:3], 0x7e
	v_lshl_add_u64 v[32:33], v[114:115], 0, s[2:3]
	s_mov_b64 s[2:3], 0xbd
	v_lshlrev_b32_e32 v33, 1, v114
	v_lshl_add_u64 v[52:53], v[114:115], 0, 63
	v_lshl_add_u64 v[34:35], v[114:115], 0, s[2:3]
	v_lshlrev_b32_e32 v97, 4, v114
	v_lshlrev_b32_e32 v194, 4, v52
	;; [unrolled: 1-line block ×4, first 2 shown]
	v_add_u32_e32 v131, 0x13b, v114
	s_movk_i32 s2, 0x7c
	v_add_u32_e32 v135, 0x1f8, v33
	s_movk_i32 s12, 0xffdc
	s_mov_b32 s13, -1
	v_cmp_gt_u16_e32 vcc, 36, v114
                                        ; implicit-def: $vgpr185
	s_waitcnt vmcnt(21)
	v_mul_f32_e32 v0, v3, v125
	v_mul_f32_e32 v1, v2, v125
	v_fmac_f32_e32 v0, v2, v124
	v_fma_f32 v1, v3, v124, -v1
	s_waitcnt vmcnt(19)
	v_mul_f32_e32 v2, v7, v123
	v_mul_f32_e32 v3, v6, v123
	v_fmac_f32_e32 v2, v6, v122
	v_fma_f32 v3, v7, v122, -v3
	ds_write_b64 v96, v[2:3] offset:3024
	s_waitcnt vmcnt(17)
	v_mul_f32_e32 v2, v11, v119
	v_mul_f32_e32 v3, v10, v119
	v_fmac_f32_e32 v2, v10, v118
	v_fma_f32 v3, v11, v118, -v3
	ds_write2_b64 v96, v[0:1], v[2:3] offset1:63
	s_waitcnt vmcnt(16)
	v_mul_f32_e32 v0, v13, v117
	v_mul_f32_e32 v1, v12, v117
	s_waitcnt vmcnt(13)
	v_mul_f32_e32 v4, v9, v107
	v_mul_f32_e32 v5, v8, v107
	v_fmac_f32_e32 v0, v12, v116
	v_fma_f32 v1, v13, v116, -v1
	v_fmac_f32_e32 v4, v8, v106
	v_fma_f32 v5, v9, v106, -v5
	s_waitcnt vmcnt(12)
	v_mul_f32_e32 v2, v15, v121
	v_mul_f32_e32 v3, v14, v121
	ds_write2_b64 v50, v[0:1], v[4:5] offset0:185 offset1:248
	s_waitcnt vmcnt(10)
	v_mul_f32_e32 v0, v17, v109
	v_mul_f32_e32 v1, v16, v109
	v_fmac_f32_e32 v2, v14, v120
	v_fma_f32 v3, v15, v120, -v3
	v_fmac_f32_e32 v0, v16, v108
	v_fma_f32 v1, v17, v108, -v1
	ds_write2_b64 v96, v[2:3], v[0:1] offset0:126 offset1:189
	s_waitcnt vmcnt(8)
	v_mul_f32_e32 v0, v19, v113
	v_mul_f32_e32 v1, v18, v113
	v_fmac_f32_e32 v0, v18, v112
	s_waitcnt vmcnt(4)
	v_mul_f32_e32 v4, v23, v103
	v_mul_f32_e32 v5, v22, v103
	v_fma_f32 v1, v19, v112, -v1
	v_fmac_f32_e32 v4, v22, v102
	v_fma_f32 v5, v23, v102, -v5
	v_mul_f32_e32 v2, v21, v105
	v_mul_f32_e32 v3, v20, v105
	ds_write2_b64 v51, v[0:1], v[4:5] offset0:55 offset1:118
	s_waitcnt vmcnt(2)
	v_mul_f32_e32 v0, v25, v101
	v_mul_f32_e32 v1, v24, v101
	v_fmac_f32_e32 v2, v20, v104
	v_fma_f32 v3, v21, v104, -v3
	v_fmac_f32_e32 v0, v24, v100
	v_fma_f32 v1, v25, v100, -v1
	ds_write2_b64 v48, v[2:3], v[0:1] offset0:124 offset1:187
	s_waitcnt vmcnt(0)
	v_mul_f32_e32 v0, v27, v99
	v_mul_f32_e32 v1, v26, v99
	v_fmac_f32_e32 v0, v26, v98
	v_fma_f32 v1, v27, v98, -v1
	ds_write_b64 v96, v[0:1] offset:5544
	s_waitcnt lgkmcnt(0)
	; wave barrier
	s_waitcnt lgkmcnt(0)
	ds_read2_b64 v[0:3], v96 offset1:63
	ds_read2_b64 v[4:7], v50 offset0:122 offset1:185
	ds_read2_b64 v[12:15], v96 offset0:126 offset1:189
	;; [unrolled: 1-line block ×5, first 2 shown]
	s_waitcnt lgkmcnt(0)
	v_pk_add_f32 v[10:11], v[0:1], v[4:5] neg_lo:[0,1] neg_hi:[0,1]
	v_pk_add_f32 v[4:5], v[2:3], v[6:7] neg_lo:[0,1] neg_hi:[0,1]
	v_pk_fma_f32 v[8:9], v[0:1], 2.0, v[10:11] op_sel_hi:[1,0,1] neg_lo:[0,0,1] neg_hi:[0,0,1]
	v_pk_add_f32 v[22:23], v[12:13], v[16:17] neg_lo:[0,1] neg_hi:[0,1]
	v_pk_add_f32 v[16:17], v[14:15], v[18:19] neg_lo:[0,1] neg_hi:[0,1]
	v_lshlrev_b32_e32 v0, 3, v33
	v_pk_add_f32 v[38:39], v[24:25], v[28:29] neg_lo:[0,1] neg_hi:[0,1]
	v_pk_add_f32 v[28:29], v[26:27], v[30:31] neg_lo:[0,1] neg_hi:[0,1]
	v_pk_fma_f32 v[2:3], v[2:3], 2.0, v[4:5] op_sel_hi:[1,0,1] neg_lo:[0,0,1] neg_hi:[0,0,1]
	v_pk_fma_f32 v[20:21], v[12:13], 2.0, v[22:23] op_sel_hi:[1,0,1] neg_lo:[0,0,1] neg_hi:[0,0,1]
	;; [unrolled: 1-line block ×5, first 2 shown]
	; wave barrier
	ds_write_b128 v97, v[8:11]
	ds_write_b128 v194, v[2:5]
	;; [unrolled: 1-line block ×4, first 2 shown]
	ds_write_b128 v0, v[36:39] offset:4032
	ds_write_b128 v97, v[26:29] offset:5040
	v_and_b32_e32 v0, 1, v34
	v_lshlrev_b32_e32 v1, 3, v0
	v_and_b32_e32 v4, 1, v131
	s_waitcnt lgkmcnt(0)
	; wave barrier
	s_waitcnt lgkmcnt(0)
	global_load_dwordx2 v[132:133], v1, s[10:11]
	v_lshlrev_b32_e32 v1, 3, v4
	global_load_dword v136, v1, s[10:11] offset:4
	global_load_dwordx2 v[128:129], v1, s[10:11]
	v_and_b32_e32 v1, 1, v114
	v_lshlrev_b32_e32 v2, 3, v1
	global_load_dwordx2 v[126:127], v2, s[10:11]
	v_and_b32_e32 v2, 1, v52
	v_lshlrev_b32_e32 v3, 3, v2
	global_load_dword v130, v3, s[10:11]
	v_lshlrev_b32_e32 v3, 1, v52
	v_and_or_b32 v8, v33, s2, v1
	s_movk_i32 s2, 0xfc
	v_lshlrev_b32_e32 v5, 1, v32
	v_lshlrev_b32_e32 v6, 1, v34
	v_and_or_b32 v2, v3, s2, v2
	s_movk_i32 s2, 0x1fc
	v_lshlrev_b32_e32 v197, 3, v2
	v_and_or_b32 v2, v5, s2, v1
	v_and_or_b32 v0, v6, s2, v0
	s_movk_i32 s2, 0x3fc
	v_lshlrev_b32_e32 v199, 3, v0
	v_and_or_b32 v0, v135, s2, v1
	v_lshlrev_b32_e32 v198, 3, v2
	v_lshlrev_b32_e32 v200, 3, v0
	ds_read2_b64 v[0:3], v51 offset0:118 offset1:181
	v_lshlrev_b32_e32 v7, 1, v131
	s_movk_i32 s2, 0x2fc
	v_and_or_b32 v4, v7, s2, v4
	v_lshlrev_b32_e32 v201, 3, v4
	ds_read2_b64 v[4:7], v48 offset0:124 offset1:187
	v_lshlrev_b32_e32 v196, 3, v8
	s_mov_b32 s2, 0x3f5db3d7
	s_waitcnt vmcnt(4)
	v_mov_b32_e32 v134, v133
	s_waitcnt vmcnt(3) lgkmcnt(1)
	v_pk_mul_f32 v[8:9], v[2:3], v[136:137] op_sel_hi:[1,0]
	s_waitcnt vmcnt(2)
	v_pk_fma_f32 v[10:11], v[2:3], v[128:129], v[8:9] op_sel:[0,0,1] op_sel_hi:[1,1,0] neg_lo:[0,0,1] neg_hi:[0,0,1]
	v_pk_fma_f32 v[2:3], v[2:3], v[128:129], v[8:9] op_sel:[0,0,1] op_sel_hi:[1,0,0]
	s_nop 0
	v_mov_b32_e32 v11, v3
	s_waitcnt lgkmcnt(0)
	v_pk_add_f32 v[8:9], v[6:7], v[10:11] neg_lo:[0,1] neg_hi:[0,1]
	s_waitcnt vmcnt(1)
	v_pk_mul_f32 v[2:3], v[0:1], v[126:127] op_sel:[0,1]
	v_pk_fma_f32 v[10:11], v[6:7], 2.0, v[8:9] op_sel_hi:[1,0,1] neg_lo:[0,0,1] neg_hi:[0,0,1]
	v_pk_fma_f32 v[6:7], v[0:1], v[126:127], v[2:3] op_sel:[0,0,1] op_sel_hi:[1,1,0] neg_lo:[0,0,1] neg_hi:[0,0,1]
	v_pk_fma_f32 v[12:13], v[0:1], v[126:127], v[2:3] op_sel:[0,0,1] op_sel_hi:[1,0,0]
	ds_read2_b64 v[0:3], v49 offset0:120 offset1:183
	v_mov_b32_e32 v7, v13
	v_pk_add_f32 v[12:13], v[4:5], v[6:7] neg_lo:[0,1] neg_hi:[0,1]
	s_waitcnt lgkmcnt(0)
	v_pk_mul_f32 v[16:17], v[2:3], v[134:135] op_sel_hi:[1,0]
	v_pk_fma_f32 v[14:15], v[4:5], 2.0, v[12:13] op_sel_hi:[1,0,1] neg_lo:[0,0,1] neg_hi:[0,0,1]
	ds_read2_b64 v[4:7], v96 offset0:126 offset1:189
	v_pk_fma_f32 v[18:19], v[2:3], v[132:133], v[16:17] op_sel:[0,0,1] op_sel_hi:[1,1,0] neg_lo:[0,0,1] neg_hi:[0,0,1]
	v_pk_fma_f32 v[2:3], v[2:3], v[132:133], v[16:17] op_sel:[0,0,1] op_sel_hi:[1,0,0]
	s_nop 0
	v_mov_b32_e32 v19, v3
	s_waitcnt lgkmcnt(0)
	v_pk_add_f32 v[16:17], v[6:7], v[18:19] neg_lo:[0,1] neg_hi:[0,1]
	v_pk_mul_f32 v[2:3], v[0:1], v[126:127] op_sel:[0,1]
	v_pk_fma_f32 v[18:19], v[6:7], 2.0, v[16:17] op_sel_hi:[1,0,1] neg_lo:[0,0,1] neg_hi:[0,0,1]
	v_pk_fma_f32 v[6:7], v[0:1], v[126:127], v[2:3] op_sel:[0,0,1] op_sel_hi:[1,1,0] neg_lo:[0,0,1] neg_hi:[0,0,1]
	v_pk_fma_f32 v[20:21], v[0:1], v[126:127], v[2:3] op_sel:[0,0,1] op_sel_hi:[1,0,0]
	ds_read2_b64 v[0:3], v50 offset0:122 offset1:185
	v_mov_b32_e32 v7, v21
	v_pk_add_f32 v[20:21], v[4:5], v[6:7] neg_lo:[0,1] neg_hi:[0,1]
	s_waitcnt lgkmcnt(0)
	v_pk_mul_f32 v[24:25], v[2:3], v[128:129] op_sel:[0,1]
	v_pk_fma_f32 v[22:23], v[4:5], 2.0, v[20:21] op_sel_hi:[1,0,1] neg_lo:[0,0,1] neg_hi:[0,0,1]
	ds_read2_b64 v[4:7], v96 offset1:63
	s_waitcnt vmcnt(0)
	v_pk_fma_f32 v[26:27], v[2:3], v[130:131], v[24:25] op_sel:[0,0,1] op_sel_hi:[1,1,0] neg_lo:[0,0,1] neg_hi:[0,0,1]
	v_pk_fma_f32 v[2:3], v[2:3], v[130:131], v[24:25] op_sel:[0,0,1] op_sel_hi:[1,0,0]
	v_pk_mul_f32 v[24:25], v[0:1], v[126:127] op_sel:[0,1]
	v_mov_b32_e32 v27, v3
	s_waitcnt lgkmcnt(0)
	v_pk_add_f32 v[2:3], v[6:7], v[26:27] neg_lo:[0,1] neg_hi:[0,1]
	v_pk_fma_f32 v[26:27], v[0:1], v[126:127], v[24:25] op_sel:[0,0,1] op_sel_hi:[1,1,0] neg_lo:[0,0,1] neg_hi:[0,0,1]
	v_pk_fma_f32 v[0:1], v[0:1], v[126:127], v[24:25] op_sel:[0,0,1] op_sel_hi:[1,0,0]
	v_pk_fma_f32 v[6:7], v[6:7], 2.0, v[2:3] op_sel_hi:[1,0,1] neg_lo:[0,0,1] neg_hi:[0,0,1]
	v_mov_b32_e32 v27, v1
	v_pk_add_f32 v[0:1], v[4:5], v[26:27] neg_lo:[0,1] neg_hi:[0,1]
	s_nop 0
	v_pk_fma_f32 v[4:5], v[4:5], 2.0, v[0:1] op_sel_hi:[1,0,1] neg_lo:[0,0,1] neg_hi:[0,0,1]
	; wave barrier
	ds_write2_b64 v196, v[4:5], v[0:1] offset1:2
	ds_write2_b64 v197, v[6:7], v[2:3] offset1:2
	;; [unrolled: 1-line block ×6, first 2 shown]
	v_and_b32_e32 v16, 3, v114
	v_lshlrev_b32_e32 v8, 4, v16
	v_and_b32_e32 v17, 3, v52
	v_and_b32_e32 v18, 3, v32
	s_waitcnt lgkmcnt(0)
	; wave barrier
	s_waitcnt lgkmcnt(0)
	v_lshlrev_b32_e32 v9, 4, v17
	global_load_dwordx4 v[0:3], v8, s[10:11] offset:16
	global_load_dwordx4 v[4:7], v9, s[10:11] offset:16
	v_lshlrev_b32_e32 v8, 4, v18
	global_load_dwordx4 v[8:11], v8, s[10:11] offset:16
	v_and_b32_e32 v20, 3, v34
	v_lshlrev_b32_e32 v12, 4, v20
	global_load_dwordx4 v[12:15], v12, s[10:11] offset:16
	s_waitcnt vmcnt(3)
	v_mov_b32_e32 v140, v0
	s_waitcnt vmcnt(2)
	v_mov_b32_e32 v144, v4
	v_mov_b32_e32 v142, v7
	s_waitcnt vmcnt(1)
	v_mov_b32_e32 v146, v11
	v_lshrrev_b32_e32 v11, 2, v114
	v_mul_u32_u24_e32 v11, 12, v11
	v_or_b32_e32 v11, v11, v16
	v_lshlrev_b32_e32 v205, 3, v11
	v_lshrrev_b32_e32 v11, 2, v52
	v_mul_u32_u24_e32 v11, 12, v11
	v_or_b32_e32 v11, v11, v17
	v_lshlrev_b32_e32 v204, 3, v11
	;; [unrolled: 4-line block ×3, first 2 shown]
	v_lshrrev_b32_e32 v11, 2, v34
	ds_read2_b64 v[16:19], v50 offset0:122 offset1:185
	v_mul_u32_u24_e32 v11, 12, v11
	v_or_b32_e32 v11, v11, v20
	ds_read2_b64 v[20:23], v96 offset0:126 offset1:189
	ds_read2_b64 v[24:27], v51 offset0:118 offset1:181
	s_waitcnt vmcnt(0)
	v_mov_b32_e32 v152, v12
	s_waitcnt lgkmcnt(2)
	v_pk_mul_f32 v[28:29], v[18:19], v[12:13] op_sel:[0,1]
	v_mov_b32_e32 v150, v15
	v_pk_fma_f32 v[36:37], v[18:19], v[152:153], v[28:29] op_sel:[0,0,1] op_sel_hi:[1,1,0] neg_lo:[0,0,1] neg_hi:[0,0,1]
	v_pk_fma_f32 v[18:19], v[18:19], v[12:13], v[28:29] op_sel:[0,0,1] op_sel_hi:[1,0,0]
	v_mov_b32_e32 v148, v8
	v_mov_b32_e32 v37, v19
	s_waitcnt lgkmcnt(0)
	v_pk_mul_f32 v[18:19], v[26:27], v[150:151] op_sel_hi:[1,0]
	v_mov_b32_e32 v138, v3
	v_pk_fma_f32 v[38:39], v[26:27], v[14:15], v[18:19] op_sel:[0,0,1] op_sel_hi:[1,1,0] neg_lo:[0,0,1] neg_hi:[0,0,1]
	v_pk_fma_f32 v[18:19], v[26:27], v[14:15], v[18:19] op_sel:[0,0,1] op_sel_hi:[1,0,0]
	v_lshlrev_b32_e32 v202, 3, v11
	v_mov_b32_e32 v39, v19
	v_pk_add_f32 v[18:19], v[22:23], v[36:37]
	s_nop 0
	v_pk_add_f32 v[40:41], v[18:19], v[38:39]
	v_pk_mul_f32 v[18:19], v[16:17], v[8:9] op_sel:[0,1]
	s_nop 0
	v_pk_fma_f32 v[42:43], v[16:17], v[148:149], v[18:19] op_sel:[0,0,1] op_sel_hi:[1,1,0] neg_lo:[0,0,1] neg_hi:[0,0,1]
	v_pk_fma_f32 v[16:17], v[16:17], v[8:9], v[18:19] op_sel:[0,0,1] op_sel_hi:[1,0,0]
	s_nop 0
	v_mov_b32_e32 v43, v17
	v_pk_mul_f32 v[16:17], v[24:25], v[146:147] op_sel_hi:[1,0]
	s_nop 0
	v_pk_fma_f32 v[44:45], v[24:25], v[10:11], v[16:17] op_sel:[0,0,1] op_sel_hi:[1,1,0] neg_lo:[0,0,1] neg_hi:[0,0,1]
	v_pk_fma_f32 v[16:17], v[24:25], v[10:11], v[16:17] op_sel:[0,0,1] op_sel_hi:[1,0,0]
	v_pk_add_f32 v[24:25], v[20:21], v[42:43]
	v_mov_b32_e32 v45, v17
	ds_read2_b64 v[16:19], v48 offset0:124 offset1:187
	v_pk_add_f32 v[46:47], v[24:25], v[44:45]
	ds_read2_b64 v[24:27], v96 offset1:63
	ds_read2_b64 v[28:31], v49 offset0:120 offset1:183
	s_waitcnt lgkmcnt(0)
	; wave barrier
	s_waitcnt lgkmcnt(0)
	v_pk_mul_f32 v[54:55], v[18:19], v[4:5] op_sel:[0,1]
	s_nop 0
	v_pk_fma_f32 v[56:57], v[18:19], v[144:145], v[54:55] op_sel:[0,0,1] op_sel_hi:[1,1,0] neg_lo:[0,0,1] neg_hi:[0,0,1]
	v_pk_fma_f32 v[18:19], v[18:19], v[4:5], v[54:55] op_sel:[0,0,1] op_sel_hi:[1,0,0]
	s_nop 0
	v_mov_b32_e32 v57, v19
	v_pk_mul_f32 v[18:19], v[30:31], v[142:143] op_sel_hi:[1,0]
	s_nop 0
	v_pk_fma_f32 v[54:55], v[30:31], v[6:7], v[18:19] op_sel:[0,0,1] op_sel_hi:[1,1,0] neg_lo:[0,0,1] neg_hi:[0,0,1]
	v_pk_fma_f32 v[18:19], v[30:31], v[6:7], v[18:19] op_sel:[0,0,1] op_sel_hi:[1,0,0]
	v_pk_mul_f32 v[30:31], v[16:17], v[0:1] op_sel:[0,1]
	v_mov_b32_e32 v55, v19
	v_pk_fma_f32 v[58:59], v[16:17], v[140:141], v[30:31] op_sel:[0,0,1] op_sel_hi:[1,1,0] neg_lo:[0,0,1] neg_hi:[0,0,1]
	v_pk_fma_f32 v[16:17], v[16:17], v[0:1], v[30:31] op_sel:[0,0,1] op_sel_hi:[1,0,0]
	v_pk_add_f32 v[18:19], v[26:27], v[56:57]
	v_mov_b32_e32 v59, v17
	v_pk_mul_f32 v[16:17], v[28:29], v[138:139] op_sel_hi:[1,0]
	v_pk_add_f32 v[18:19], v[18:19], v[54:55]
	v_pk_fma_f32 v[30:31], v[28:29], v[2:3], v[16:17] op_sel:[0,0,1] op_sel_hi:[1,1,0] neg_lo:[0,0,1] neg_hi:[0,0,1]
	v_pk_fma_f32 v[16:17], v[28:29], v[2:3], v[16:17] op_sel:[0,0,1] op_sel_hi:[1,0,0]
	s_nop 0
	v_mov_b32_e32 v31, v17
	v_pk_add_f32 v[28:29], v[58:59], v[30:31]
	v_pk_add_f32 v[16:17], v[24:25], v[58:59]
	v_pk_fma_f32 v[24:25], v[28:29], 0.5, v[24:25] op_sel_hi:[1,0,1] neg_lo:[1,0,0] neg_hi:[1,0,0]
	v_pk_add_f32 v[28:29], v[58:59], v[30:31] neg_lo:[0,1] neg_hi:[0,1]
	v_pk_add_f32 v[16:17], v[16:17], v[30:31]
	v_pk_mul_f32 v[28:29], v[28:29], s[2:3] op_sel_hi:[1,0]
	s_nop 0
	v_pk_add_f32 v[30:31], v[24:25], v[28:29] op_sel:[0,1] op_sel_hi:[1,0]
	v_pk_add_f32 v[24:25], v[24:25], v[28:29] op_sel:[0,1] op_sel_hi:[1,0] neg_lo:[0,1] neg_hi:[0,1]
	v_mov_b32_e32 v28, v30
	v_mov_b32_e32 v29, v25
	;; [unrolled: 1-line block ×3, first 2 shown]
	ds_write2_b64 v205, v[16:17], v[28:29] offset1:4
	ds_write_b64 v205, v[24:25] offset:64
	v_pk_add_f32 v[16:17], v[56:57], v[54:55]
	v_pk_add_f32 v[24:25], v[56:57], v[54:55] neg_lo:[0,1] neg_hi:[0,1]
	v_pk_fma_f32 v[16:17], v[16:17], 0.5, v[26:27] op_sel_hi:[1,0,1] neg_lo:[1,0,0] neg_hi:[1,0,0]
	v_pk_mul_f32 v[24:25], v[24:25], s[2:3] op_sel_hi:[1,0]
	s_nop 0
	v_pk_add_f32 v[26:27], v[16:17], v[24:25] op_sel:[0,1] op_sel_hi:[1,0]
	v_pk_add_f32 v[16:17], v[16:17], v[24:25] op_sel:[0,1] op_sel_hi:[1,0] neg_lo:[0,1] neg_hi:[0,1]
	v_mov_b32_e32 v24, v26
	v_mov_b32_e32 v25, v17
	;; [unrolled: 1-line block ×3, first 2 shown]
	ds_write2_b64 v204, v[18:19], v[24:25] offset1:4
	ds_write_b64 v204, v[16:17] offset:64
	v_pk_add_f32 v[16:17], v[42:43], v[44:45]
	v_pk_add_f32 v[18:19], v[42:43], v[44:45] neg_lo:[0,1] neg_hi:[0,1]
	v_pk_fma_f32 v[16:17], v[16:17], 0.5, v[20:21] op_sel_hi:[1,0,1] neg_lo:[1,0,0] neg_hi:[1,0,0]
	v_pk_mul_f32 v[18:19], v[18:19], s[2:3] op_sel_hi:[1,0]
	s_nop 0
	v_pk_add_f32 v[20:21], v[16:17], v[18:19] op_sel:[0,1] op_sel_hi:[1,0]
	v_pk_add_f32 v[16:17], v[16:17], v[18:19] op_sel:[0,1] op_sel_hi:[1,0] neg_lo:[0,1] neg_hi:[0,1]
	v_mov_b32_e32 v18, v20
	v_mov_b32_e32 v19, v17
	ds_write2_b64 v203, v[46:47], v[18:19] offset1:4
	v_pk_add_f32 v[18:19], v[36:37], v[38:39] neg_lo:[0,1] neg_hi:[0,1]
	v_mov_b32_e32 v17, v21
	v_pk_mul_f32 v[18:19], v[18:19], s[2:3] op_sel_hi:[1,0]
	s_movk_i32 s3, 0xab
	v_mul_lo_u16_sdwa v0, v114, s3 dst_sel:DWORD dst_unused:UNUSED_PAD src0_sel:BYTE_0 src1_sel:DWORD
	v_lshrrev_b16_e32 v0, 11, v0
	v_mul_lo_u16_sdwa v7, v52, s3 dst_sel:DWORD dst_unused:UNUSED_PAD src0_sel:BYTE_0 src1_sel:DWORD
	ds_write_b64 v203, v[16:17] offset:64
	v_pk_add_f32 v[16:17], v[36:37], v[38:39]
	v_mul_lo_u16_e32 v3, 12, v0
	v_lshrrev_b16_e32 v7, 11, v7
	v_pk_fma_f32 v[16:17], v[16:17], 0.5, v[22:23] op_sel_hi:[1,0,1] neg_lo:[1,0,0] neg_hi:[1,0,0]
	v_sub_u16_e32 v3, v114, v3
	v_mul_lo_u16_e32 v8, 12, v7
	v_pk_add_f32 v[20:21], v[16:17], v[18:19] op_sel:[0,1] op_sel_hi:[1,0]
	v_pk_add_f32 v[16:17], v[16:17], v[18:19] op_sel:[0,1] op_sel_hi:[1,0] neg_lo:[0,1] neg_hi:[0,1]
	v_and_b32_e32 v3, 0xff, v3
	v_sub_u16_e32 v8, v52, v8
	v_mov_b32_e32 v18, v20
	v_mov_b32_e32 v19, v17
	;; [unrolled: 1-line block ×3, first 2 shown]
	v_lshlrev_b32_e32 v4, 4, v3
	v_and_b32_e32 v8, 0xff, v8
	ds_write2_b64 v202, v[40:41], v[18:19] offset1:4
	ds_write_b64 v202, v[16:17] offset:64
	s_waitcnt lgkmcnt(0)
	; wave barrier
	s_waitcnt lgkmcnt(0)
	v_lshlrev_b32_e32 v11, 4, v8
	global_load_dwordx4 v[16:19], v4, s[10:11] offset:80
	global_load_dwordx4 v[20:23], v11, s[10:11] offset:80
	v_mul_lo_u16_sdwa v4, v32, s3 dst_sel:DWORD dst_unused:UNUSED_PAD src0_sel:BYTE_0 src1_sel:DWORD
	v_lshrrev_b16_e32 v4, 11, v4
	v_mul_lo_u16_e32 v11, 12, v4
	v_mul_lo_u16_sdwa v15, v34, s3 dst_sel:DWORD dst_unused:UNUSED_PAD src0_sel:BYTE_0 src1_sel:DWORD
	v_sub_u16_e32 v11, v32, v11
	v_lshrrev_b16_e32 v15, 11, v15
	v_and_b32_e32 v11, 0xff, v11
	v_mul_lo_u16_e32 v24, 12, v15
	v_lshlrev_b32_e32 v12, 4, v11
	v_sub_u16_e32 v28, v34, v24
	global_load_dwordx4 v[24:27], v12, s[10:11] offset:80
	v_and_b32_e32 v12, 0xff, v28
	v_lshlrev_b32_e32 v28, 4, v12
	global_load_dwordx4 v[28:31], v28, s[10:11] offset:80
	ds_read2_b64 v[36:39], v50 offset0:122 offset1:185
	ds_read2_b64 v[40:43], v51 offset0:118 offset1:181
	v_mul_lo_u16_e32 v0, 36, v0
	v_and_b32_e32 v0, 0xfc, v0
	v_add_lshl_u32 v208, v0, v3, 3
	v_mul_u32_u24_e32 v0, 36, v7
	v_add_lshl_u32 v209, v0, v8, 3
	v_mul_u32_u24_e32 v0, 36, v4
	;; [unrolled: 2-line block ×3, first 2 shown]
	v_add_lshl_u32 v206, v0, v12, 3
	v_mov_b32_e32 v0, 57
	v_mul_lo_u16_sdwa v3, v32, v0 dst_sel:DWORD dst_unused:UNUSED_PAD src0_sel:BYTE_0 src1_sel:DWORD
	v_lshrrev_b16_e32 v4, 11, v3
	v_mul_lo_u16_sdwa v8, v34, v0 dst_sel:DWORD dst_unused:UNUSED_PAD src0_sel:BYTE_0 src1_sel:DWORD
	v_mul_lo_u16_e32 v3, 36, v4
	v_lshrrev_b16_e32 v8, 11, v8
	v_sub_u16_e32 v3, v32, v3
	v_mul_lo_u16_e32 v11, 36, v8
	v_and_b32_e32 v7, 0xff, v3
	v_sub_u16_e32 v11, v34, v11
	v_lshlrev_b32_e32 v3, 4, v7
	v_and_b32_e32 v11, 0xff, v11
	v_mul_lo_u16_sdwa v0, v52, v0 dst_sel:DWORD dst_unused:UNUSED_PAD src0_sel:BYTE_0 src1_sel:DWORD
	s_waitcnt vmcnt(3)
	v_mov_b32_e32 v154, v16
	s_waitcnt vmcnt(2)
	v_mov_b32_e32 v156, v20
	v_mov_b32_e32 v168, v23
	;; [unrolled: 1-line block ×3, first 2 shown]
	s_waitcnt vmcnt(1)
	v_mov_b32_e32 v158, v24
	v_mov_b32_e32 v160, v27
	s_waitcnt vmcnt(0)
	v_mov_b32_e32 v164, v28
	v_mov_b32_e32 v162, v31
	s_waitcnt lgkmcnt(1)
	v_pk_mul_f32 v[44:45], v[38:39], v[28:29] op_sel:[0,1]
	s_nop 0
	v_pk_fma_f32 v[46:47], v[38:39], v[164:165], v[44:45] op_sel:[0,0,1] op_sel_hi:[1,1,0] neg_lo:[0,0,1] neg_hi:[0,0,1]
	v_pk_fma_f32 v[54:55], v[38:39], v[28:29], v[44:45] op_sel:[0,0,1] op_sel_hi:[1,0,0]
	s_waitcnt lgkmcnt(0)
	v_pk_mul_f32 v[38:39], v[42:43], v[162:163] op_sel_hi:[1,0]
	v_mov_b32_e32 v47, v55
	v_pk_fma_f32 v[56:57], v[42:43], v[30:31], v[38:39] op_sel:[0,0,1] op_sel_hi:[1,1,0] neg_lo:[0,0,1] neg_hi:[0,0,1]
	v_pk_fma_f32 v[58:59], v[42:43], v[30:31], v[38:39] op_sel:[0,0,1] op_sel_hi:[1,0,0]
	ds_read2_b64 v[42:45], v48 offset0:124 offset1:187
	v_pk_mul_f32 v[38:39], v[36:37], v[24:25] op_sel:[0,1]
	v_mov_b32_e32 v57, v59
	v_pk_fma_f32 v[60:61], v[36:37], v[158:159], v[38:39] op_sel:[0,0,1] op_sel_hi:[1,1,0] neg_lo:[0,0,1] neg_hi:[0,0,1]
	v_pk_fma_f32 v[62:63], v[36:37], v[24:25], v[38:39] op_sel:[0,0,1] op_sel_hi:[1,0,0]
	v_pk_mul_f32 v[36:37], v[40:41], v[160:161] op_sel_hi:[1,0]
	v_mov_b32_e32 v61, v63
	v_pk_fma_f32 v[64:65], v[40:41], v[26:27], v[36:37] op_sel:[0,0,1] op_sel_hi:[1,1,0] neg_lo:[0,0,1] neg_hi:[0,0,1]
	v_pk_fma_f32 v[66:67], v[40:41], v[26:27], v[36:37] op_sel:[0,0,1] op_sel_hi:[1,0,0]
	s_waitcnt lgkmcnt(0)
	v_pk_mul_f32 v[36:37], v[44:45], v[20:21] op_sel:[0,1]
	v_pk_mul_f32 v[40:41], v[42:43], v[16:17] op_sel:[0,1]
	v_pk_fma_f32 v[68:69], v[44:45], v[156:157], v[36:37] op_sel:[0,0,1] op_sel_hi:[1,1,0] neg_lo:[0,0,1] neg_hi:[0,0,1]
	v_pk_fma_f32 v[44:45], v[44:45], v[20:21], v[36:37] op_sel:[0,0,1] op_sel_hi:[1,0,0]
	ds_read2_b64 v[36:39], v49 offset0:120 offset1:183
	v_pk_fma_f32 v[70:71], v[42:43], v[154:155], v[40:41] op_sel:[0,0,1] op_sel_hi:[1,1,0] neg_lo:[0,0,1] neg_hi:[0,0,1]
	v_pk_fma_f32 v[42:43], v[42:43], v[16:17], v[40:41] op_sel:[0,0,1] op_sel_hi:[1,0,0]
	v_mov_b32_e32 v69, v45
	v_mov_b32_e32 v71, v43
	s_waitcnt lgkmcnt(0)
	v_pk_mul_f32 v[40:41], v[38:39], v[168:169] op_sel_hi:[1,0]
	v_pk_mul_f32 v[76:77], v[36:37], v[166:167] op_sel_hi:[1,0]
	v_pk_fma_f32 v[72:73], v[38:39], v[22:23], v[40:41] op_sel:[0,0,1] op_sel_hi:[1,1,0] neg_lo:[0,0,1] neg_hi:[0,0,1]
	v_pk_fma_f32 v[74:75], v[38:39], v[22:23], v[40:41] op_sel:[0,0,1] op_sel_hi:[1,0,0]
	ds_read2_b64 v[38:41], v96 offset1:63
	v_pk_fma_f32 v[78:79], v[36:37], v[18:19], v[76:77] op_sel:[0,0,1] op_sel_hi:[1,1,0] neg_lo:[0,0,1] neg_hi:[0,0,1]
	v_pk_fma_f32 v[36:37], v[36:37], v[18:19], v[76:77] op_sel:[0,0,1] op_sel_hi:[1,0,0]
	v_mov_b32_e32 v73, v75
	v_mov_b32_e32 v79, v37
	s_waitcnt lgkmcnt(0)
	v_pk_add_f32 v[36:37], v[38:39], v[70:71]
	v_pk_add_f32 v[58:59], v[68:69], v[72:73]
	;; [unrolled: 1-line block ×4, first 2 shown]
	v_pk_add_f32 v[70:71], v[70:71], v[78:79] neg_lo:[0,1] neg_hi:[0,1]
	v_pk_fma_f32 v[36:37], v[36:37], 0.5, v[38:39] op_sel_hi:[1,0,1] neg_lo:[1,0,0] neg_hi:[1,0,0]
	v_pk_mul_f32 v[38:39], v[70:71], s[2:3] op_sel_hi:[1,0]
	v_pk_add_f32 v[54:55], v[40:41], v[68:69]
	v_pk_add_f32 v[70:71], v[36:37], v[38:39] op_sel:[0,1] op_sel_hi:[1,0]
	v_pk_add_f32 v[76:77], v[36:37], v[38:39] op_sel:[0,1] op_sel_hi:[1,0] neg_lo:[0,1] neg_hi:[0,1]
	ds_read2_b64 v[36:39], v96 offset0:126 offset1:189
	v_pk_fma_f32 v[40:41], v[58:59], 0.5, v[40:41] op_sel_hi:[1,0,1] neg_lo:[1,0,0] neg_hi:[1,0,0]
	v_pk_add_f32 v[58:59], v[68:69], v[72:73] neg_lo:[0,1] neg_hi:[0,1]
	v_mov_b32_e32 v78, v70
	v_pk_mul_f32 v[58:59], v[58:59], s[2:3] op_sel_hi:[1,0]
	v_mov_b32_e32 v79, v77
	v_pk_add_f32 v[62:63], v[40:41], v[58:59] op_sel:[0,1] op_sel_hi:[1,0]
	v_pk_add_f32 v[40:41], v[40:41], v[58:59] op_sel:[0,1] op_sel_hi:[1,0] neg_lo:[0,1] neg_hi:[0,1]
	v_mov_b32_e32 v65, v67
	v_mov_b32_e32 v77, v71
	;; [unrolled: 1-line block ×4, first 2 shown]
	s_waitcnt lgkmcnt(0)
	; wave barrier
	s_waitcnt lgkmcnt(0)
	ds_write2_b64 v208, v[42:43], v[78:79] offset1:12
	ds_write_b64 v208, v[76:77] offset:192
	ds_write_b64 v209, v[40:41] offset:192
	v_pk_add_f32 v[40:41], v[60:61], v[64:65]
	v_pk_add_f32 v[44:45], v[36:37], v[60:61]
	v_pk_fma_f32 v[36:37], v[40:41], 0.5, v[36:37] op_sel_hi:[1,0,1] neg_lo:[1,0,0] neg_hi:[1,0,0]
	v_pk_add_f32 v[40:41], v[60:61], v[64:65] neg_lo:[0,1] neg_hi:[0,1]
	v_pk_add_f32 v[54:55], v[54:55], v[72:73]
	v_mov_b32_e32 v58, v62
	v_pk_mul_f32 v[40:41], v[40:41], s[2:3] op_sel_hi:[1,0]
	ds_write2_b64 v209, v[54:55], v[58:59] offset1:12
	v_pk_add_f32 v[54:55], v[36:37], v[40:41] op_sel:[0,1] op_sel_hi:[1,0]
	v_pk_add_f32 v[36:37], v[36:37], v[40:41] op_sel:[0,1] op_sel_hi:[1,0] neg_lo:[0,1] neg_hi:[0,1]
	v_pk_add_f32 v[42:43], v[38:39], v[46:47]
	v_mov_b32_e32 v41, v37
	v_mov_b32_e32 v37, v55
	ds_write_b64 v207, v[36:37] offset:192
	v_pk_add_f32 v[36:37], v[46:47], v[56:57]
	v_pk_add_f32 v[44:45], v[44:45], v[64:65]
	v_pk_fma_f32 v[36:37], v[36:37], 0.5, v[38:39] op_sel_hi:[1,0,1] neg_lo:[1,0,0] neg_hi:[1,0,0]
	v_pk_add_f32 v[38:39], v[46:47], v[56:57] neg_lo:[0,1] neg_hi:[0,1]
	v_mov_b32_e32 v40, v54
	v_pk_mul_f32 v[38:39], v[38:39], s[2:3] op_sel_hi:[1,0]
	ds_write2_b64 v207, v[44:45], v[40:41] offset1:12
	v_pk_add_f32 v[40:41], v[36:37], v[38:39] op_sel:[0,1] op_sel_hi:[1,0]
	v_pk_add_f32 v[36:37], v[36:37], v[38:39] op_sel:[0,1] op_sel_hi:[1,0] neg_lo:[0,1] neg_hi:[0,1]
	v_pk_add_f32 v[42:43], v[42:43], v[56:57]
	v_mov_b32_e32 v38, v40
	v_mov_b32_e32 v39, v37
	;; [unrolled: 1-line block ×3, first 2 shown]
	ds_write2_b64 v206, v[42:43], v[38:39] offset1:12
	ds_write_b64 v206, v[36:37] offset:192
	s_waitcnt lgkmcnt(0)
	; wave barrier
	s_waitcnt lgkmcnt(0)
	global_load_dwordx4 v[36:39], v3, s[10:11] offset:272
	v_lshlrev_b32_e32 v3, 4, v11
	global_load_dwordx4 v[32:35], v3, s[10:11] offset:272
	v_lshrrev_b16_e32 v3, 11, v0
	v_mul_lo_u16_e32 v0, 36, v3
	v_sub_u16_e32 v0, v52, v0
	v_and_b32_e32 v12, 0xff, v0
	v_lshlrev_b32_e32 v0, 4, v12
	global_load_dwordx4 v[40:43], v0, s[10:11] offset:272
	v_lshl_add_u64 v[44:45], v[114:115], 0, s[12:13]
	v_cndmask_b32_e64 v63, v45, 0, vcc
	v_cndmask_b32_e32 v62, v44, v114, vcc
	v_lshl_add_u64 v[44:45], v[62:63], 4, s[10:11]
	global_load_dwordx4 v[44:47], v[44:45], off offset:272
	ds_read2_b64 v[54:57], v50 offset0:122 offset1:185
	ds_read2_b64 v[58:61], v51 offset0:118 offset1:181
	v_cmp_lt_u16_e32 vcc, 35, v114
	s_load_dwordx2 s[12:13], s[0:1], 0x38
	v_cmp_gt_u16_e64 s[0:1], 45, v114
	s_waitcnt vmcnt(3)
	v_mov_b32_e32 v180, v36
	v_mov_b32_e32 v178, v39
	s_waitcnt vmcnt(2) lgkmcnt(0)
	v_pk_mul_f32 v[50:51], v[56:57], v[32:33] op_sel:[0,1]
	v_mov_b32_e32 v0, v35
	v_pk_fma_f32 v[64:65], v[56:57], v[32:33], v[50:51] op_sel:[0,0,1] op_sel_hi:[1,1,0] neg_lo:[0,0,1] neg_hi:[0,0,1]
	v_pk_fma_f32 v[50:51], v[56:57], v[32:33], v[50:51] op_sel:[0,0,1] op_sel_hi:[1,0,0]
	v_pk_mul_f32 v[56:57], v[54:55], v[36:37] op_sel:[0,1]
	v_mov_b32_e32 v65, v51
	v_pk_fma_f32 v[66:67], v[54:55], v[180:181], v[56:57] op_sel:[0,0,1] op_sel_hi:[1,1,0] neg_lo:[0,0,1] neg_hi:[0,0,1]
	v_pk_fma_f32 v[68:69], v[54:55], v[36:37], v[56:57] op_sel:[0,0,1] op_sel_hi:[1,0,0]
	v_pk_mul_f32 v[54:55], v[60:61], v[0:1] op_sel_hi:[1,0]
	s_waitcnt vmcnt(1)
	v_mov_b32_e32 v172, v40
	v_pk_fma_f32 v[70:71], v[60:61], v[34:35], v[54:55] op_sel:[0,0,1] op_sel_hi:[1,1,0] neg_lo:[0,0,1] neg_hi:[0,0,1]
	v_pk_fma_f32 v[72:73], v[60:61], v[34:35], v[54:55] op_sel:[0,0,1] op_sel_hi:[1,0,0]
	ds_read2_b64 v[54:57], v48 offset0:124 offset1:187
	v_pk_mul_f32 v[60:61], v[58:59], v[178:179] op_sel_hi:[1,0]
	s_waitcnt vmcnt(0)
	v_mov_b32_e32 v170, v44
	v_pk_fma_f32 v[74:75], v[58:59], v[38:39], v[60:61] op_sel:[0,0,1] op_sel_hi:[1,1,0] neg_lo:[0,0,1] neg_hi:[0,0,1]
	v_pk_fma_f32 v[76:77], v[58:59], v[38:39], v[60:61] op_sel:[0,0,1] op_sel_hi:[1,0,0]
	s_waitcnt lgkmcnt(0)
	v_pk_mul_f32 v[58:59], v[56:57], v[40:41] op_sel:[0,1]
	v_pk_mul_f32 v[60:61], v[54:55], v[44:45] op_sel:[0,1]
	v_pk_fma_f32 v[78:79], v[56:57], v[172:173], v[58:59] op_sel:[0,0,1] op_sel_hi:[1,1,0] neg_lo:[0,0,1] neg_hi:[0,0,1]
	v_pk_fma_f32 v[80:81], v[56:57], v[40:41], v[58:59] op_sel:[0,0,1] op_sel_hi:[1,0,0]
	ds_read2_b64 v[56:59], v49 offset0:120 offset1:183
	v_mov_b32_e32 v176, v43
	v_pk_fma_f32 v[82:83], v[54:55], v[170:171], v[60:61] op_sel:[0,0,1] op_sel_hi:[1,1,0] neg_lo:[0,0,1] neg_hi:[0,0,1]
	v_pk_fma_f32 v[60:61], v[54:55], v[44:45], v[60:61] op_sel:[0,0,1] op_sel_hi:[1,0,0]
	v_mov_b32_e32 v174, v47
	s_waitcnt lgkmcnt(0)
	v_pk_mul_f32 v[54:55], v[58:59], v[176:177] op_sel_hi:[1,0]
	v_mov_b32_e32 v0, 0x6c
	v_pk_fma_f32 v[84:85], v[58:59], v[42:43], v[54:55] op_sel:[0,0,1] op_sel_hi:[1,1,0] neg_lo:[0,0,1] neg_hi:[0,0,1]
	v_pk_fma_f32 v[86:87], v[58:59], v[42:43], v[54:55] op_sel:[0,0,1] op_sel_hi:[1,0,0]
	v_pk_mul_f32 v[54:55], v[56:57], v[174:175] op_sel_hi:[1,0]
	v_mov_b32_e32 v83, v61
	v_pk_fma_f32 v[58:59], v[56:57], v[46:47], v[54:55] op_sel:[0,0,1] op_sel_hi:[1,1,0] neg_lo:[0,0,1] neg_hi:[0,0,1]
	v_pk_fma_f32 v[88:89], v[56:57], v[46:47], v[54:55] op_sel:[0,0,1] op_sel_hi:[1,0,0]
	ds_read2_b64 v[54:57], v96 offset1:63
	v_cndmask_b32_e32 v0, 0, v0, vcc
	v_mov_b32_e32 v59, v89
	v_add_lshl_u32 v115, v62, v0, 3
	v_mov_b32_e32 v79, v81
	s_waitcnt lgkmcnt(0)
	v_pk_add_f32 v[60:61], v[54:55], v[82:83]
	v_mov_b32_e32 v85, v87
	v_pk_add_f32 v[62:63], v[60:61], v[58:59]
	v_pk_add_f32 v[60:61], v[82:83], v[58:59]
	v_pk_add_f32 v[58:59], v[82:83], v[58:59] neg_lo:[0,1] neg_hi:[0,1]
	v_pk_fma_f32 v[54:55], v[60:61], 0.5, v[54:55] op_sel_hi:[1,0,1] neg_lo:[1,0,0] neg_hi:[1,0,0]
	v_pk_mul_f32 v[58:59], v[58:59], s[2:3] op_sel_hi:[1,0]
	v_mul_u32_u24_e32 v0, 0x6c, v3
	v_pk_add_f32 v[82:83], v[54:55], v[58:59] op_sel:[0,1] op_sel_hi:[1,0]
	v_pk_add_f32 v[54:55], v[54:55], v[58:59] op_sel:[0,1] op_sel_hi:[1,0] neg_lo:[0,1] neg_hi:[0,1]
	v_mov_b32_e32 v88, v82
	v_mov_b32_e32 v89, v55
	ds_read2_b64 v[58:61], v96 offset0:126 offset1:189
	s_waitcnt lgkmcnt(0)
	; wave barrier
	s_waitcnt lgkmcnt(0)
	ds_write2_b64 v115, v[62:63], v[88:89] offset1:36
	v_pk_add_f32 v[62:63], v[78:79], v[84:85]
	v_mov_b32_e32 v55, v83
	v_pk_fma_f32 v[62:63], v[62:63], 0.5, v[56:57] op_sel_hi:[1,0,1] neg_lo:[1,0,0] neg_hi:[1,0,0]
	v_pk_add_f32 v[56:57], v[56:57], v[78:79]
	ds_write_b64 v115, v[54:55] offset:576
	v_pk_add_f32 v[54:55], v[56:57], v[84:85]
	v_pk_add_f32 v[56:57], v[78:79], v[84:85] neg_lo:[0,1] neg_hi:[0,1]
	v_add_lshl_u32 v210, v0, v12, 3
	v_pk_mul_f32 v[56:57], v[56:57], s[2:3] op_sel_hi:[1,0]
	v_mov_b32_e32 v67, v69
	v_pk_add_f32 v[78:79], v[62:63], v[56:57] op_sel:[0,1] op_sel_hi:[1,0]
	v_pk_add_f32 v[56:57], v[62:63], v[56:57] op_sel:[0,1] op_sel_hi:[1,0] neg_lo:[0,1] neg_hi:[0,1]
	v_mov_b32_e32 v62, v78
	v_mov_b32_e32 v63, v57
	ds_write2_b64 v210, v[54:55], v[62:63] offset1:36
	v_mov_b32_e32 v75, v77
	v_mov_b32_e32 v54, v58
	;; [unrolled: 1-line block ×3, first 2 shown]
	v_pk_add_f32 v[62:63], v[60:61], v[64:65]
	v_mov_b32_e32 v60, v59
	v_pk_add_f32 v[58:59], v[58:59], v[66:67]
	v_mov_b32_e32 v50, v69
	v_mov_b32_e32 v72, v77
	;; [unrolled: 1-line block ×3, first 2 shown]
	v_pk_add_f32 v[58:59], v[58:59], v[74:75]
	v_mov_b32_e32 v75, v70
	v_pk_add_f32 v[68:69], v[50:51], v[72:73]
	v_pk_add_f32 v[64:65], v[66:67], v[74:75]
	v_pk_add_f32 v[66:67], v[66:67], v[74:75] neg_lo:[0,1] neg_hi:[0,1]
	v_mov_b32_e32 v57, v79
	v_pk_fma_f32 v[60:61], v[68:69], 0.5, v[60:61] op_sel_hi:[1,0,1] neg_lo:[1,0,0] neg_hi:[1,0,0]
	v_pk_add_f32 v[50:51], v[50:51], v[72:73] neg_lo:[0,1] neg_hi:[0,1]
	v_pk_fma_f32 v[54:55], v[64:65], 0.5, v[54:55] op_sel_hi:[1,0,1] neg_lo:[1,0,0] neg_hi:[1,0,0]
	ds_write_b64 v210, v[56:57] offset:576
	v_pk_mul_f32 v[56:57], v[66:67], s[2:3] op_sel_hi:[1,0]
	v_mov_b32_e32 v71, v73
	v_mov_b32_e32 v64, v54
	v_mov_b32_e32 v65, v56
	v_mov_b32_e32 v3, v60
	v_pk_fma_f32 v[72:73], v[50:51], s[2:3], v[54:55] op_sel_hi:[1,0,1]
	v_pk_fma_f32 v[182:183], v[50:51], s[2:3], v[54:55] op_sel_hi:[1,0,1] neg_lo:[1,0,0] neg_hi:[1,0,0]
	v_pk_mul_f32 v[50:51], v[50:51], s[2:3] op_sel_hi:[1,0]
	v_pk_add_f32 v[64:65], v[2:3], v[64:65] neg_lo:[0,1] neg_hi:[0,1]
	v_mul_u32_u24_e32 v0, 0x6c, v4
	v_mov_b32_e32 v56, v55
	v_mov_b32_e32 v50, v51
	;; [unrolled: 1-line block ×4, first 2 shown]
	v_add_lshl_u32 v211, v0, v7, 3
	v_pk_fma_f32 v[80:81], v[66:67], s[2:3], v[60:61] op_sel_hi:[1,0,1]
	v_pk_add_f32 v[74:75], v[50:51], v[56:57]
	v_pk_fma_f32 v[50:51], v[66:67], s[2:3], v[60:61] op_sel_hi:[1,0,1] neg_lo:[1,0,0] neg_hi:[1,0,0]
	v_mul_u32_u24_e32 v0, 0x6c, v8
	ds_write2_b64 v211, v[58:59], v[72:73] offset1:36
	v_mov_b32_e32 v58, v182
	v_mov_b32_e32 v59, v80
	;; [unrolled: 1-line block ×3, first 2 shown]
	v_add_lshl_u32 v212, v0, v11, 3
	v_mov_b32_e32 v50, v183
	v_mov_b32_e32 v51, v81
	v_pk_add_f32 v[84:85], v[62:63], v[70:71]
	ds_write_b64 v211, v[58:59] offset:576
	ds_write_b64 v212, v[50:51] offset:576
	ds_write2_b64 v212, v[84:85], v[74:75] offset1:36
	s_waitcnt lgkmcnt(0)
	; wave barrier
	s_waitcnt lgkmcnt(0)
	ds_read_b64 v[186:187], v96 offset:5184
	ds_read2_b64 v[92:95], v48 offset0:88 offset1:196
	ds_read2_b64 v[88:91], v49 offset0:48 offset1:156
	ds_read2_b64 v[76:79], v96 offset1:108
	v_cmp_lt_u16_e64 s[2:3], 44, v114
	s_and_saveexec_b64 s[14:15], s[2:3]
	s_xor_b64 s[14:15], exec, s[14:15]
; %bb.2:
	v_mov_b32_e32 v185, v74
; %bb.3:
	s_or_saveexec_b64 s[14:15], s[14:15]
                                        ; implicit-def: $vgpr0
	s_xor_b64 exec, exec, s[14:15]
	s_cbranch_execz .LBB0_5
; %bb.4:
	v_add_u32_e32 v0, 0xc00, v96
	ds_read2_b64 v[72:75], v96 offset0:63 offset1:171
	ds_read2_b64 v[80:83], v0 offset0:111 offset1:219
	v_add_u32_e32 v0, 0x800, v96
	ds_read_b64 v[184:185], v96 offset:5688
	ds_read2_b64 v[84:87], v0 offset0:23 offset1:131
	s_waitcnt lgkmcnt(3)
	v_mov_b32_e32 v182, v74
	s_waitcnt lgkmcnt(2)
	v_mov_b32_e32 v183, v80
	v_mov_b32_e32 v80, v75
	s_waitcnt lgkmcnt(1)
	v_mov_b32_e32 v74, v185
	s_waitcnt lgkmcnt(0)
	v_mov_b32_e32 v75, v87
	v_mov_b32_e32 v185, v86
	;; [unrolled: 1-line block ×3, first 2 shown]
.LBB0_5:
	s_or_b64 exec, exec, s[14:15]
	v_subrev_u32_e32 v3, 45, v114
	v_mad_u64_u32 v[54:55], s[14:15], v114, 48, s[10:11]
	v_cndmask_b32_e64 v3, v3, v52, s[0:1]
	global_load_dwordx4 v[48:51], v[54:55], off offset:880
	global_load_dwordx4 v[64:67], v[54:55], off offset:848
	;; [unrolled: 1-line block ×3, first 2 shown]
	v_mul_hi_i32_i24_e32 v53, 48, v3
	v_mul_i32_i24_e32 v52, 48, v3
	v_lshl_add_u64 v[56:57], s[10:11], 0, v[52:53]
	global_load_dwordx4 v[52:55], v[56:57], off offset:848
	global_load_dwordx4 v[60:63], v[56:57], off offset:864
	s_nop 0
	global_load_dwordx4 v[56:59], v[56:57], off offset:880
	s_waitcnt lgkmcnt(1)
	v_mov_b32_e32 v190, v91
	v_mov_b32_e32 v192, v93
	v_mov_b32_e32 v191, v94
	v_mov_b32_e32 v193, v88
	v_mov_b32_e32 v188, v182
	v_mov_b32_e32 v189, v185
	v_mov_b32_e32 v86, v80
	v_mov_b32_e32 v87, v75
	s_mov_b32 s18, 0x3eae86e6
	s_mov_b32 s19, 0xbf08b237
	;; [unrolled: 1-line block ×10, first 2 shown]
	v_add_u32_e32 v213, 0x400, v96
	v_mov_b32_e32 v137, v136
	v_mov_b32_e32 v133, v132
	;; [unrolled: 1-line block ×42, first 2 shown]
	s_waitcnt vmcnt(5)
	v_pk_mul_f32 v[214:215], v[186:187], v[50:51] op_sel_hi:[1,0]
	v_mov_b32_e32 v4, v51
	s_waitcnt vmcnt(4)
	v_mul_f32_e32 v3, v93, v67
	v_mov_b32_e32 v93, v89
	v_mov_b32_e32 v218, v67
	s_waitcnt vmcnt(3)
	v_mov_b32_e32 v219, v71
	v_mul_f32_e32 v7, v91, v49
	v_mov_b32_e32 v91, v95
	v_mov_b32_e32 v220, v49
	;; [unrolled: 1-line block ×3, first 2 shown]
	s_waitcnt lgkmcnt(0)
	v_pk_mul_f32 v[226:227], v[78:79], v[64:65] op_sel_hi:[1,0]
	v_mul_f32_e32 v217, v95, v68
	v_mul_f32_e32 v95, v94, v69
	v_mov_b32_e32 v222, v66
	v_mov_b32_e32 v223, v70
	;; [unrolled: 1-line block ×4, first 2 shown]
	v_pk_fma_f32 v[228:229], v[186:187], v[4:5], v[214:215] op_sel:[0,0,1] op_sel_hi:[1,0,0]
	v_pk_fma_f32 v[186:187], v[186:187], v[4:5], v[214:215] op_sel:[0,0,1] op_sel_hi:[1,0,0] neg_lo:[1,0,0] neg_hi:[1,0,0]
	v_fma_f32 v216, v92, v66, -v3
	v_pk_mul_f32 v[92:93], v[92:93], v[218:219]
	v_fma_f32 v94, v90, v48, -v7
	v_pk_mul_f32 v[90:91], v[90:91], v[220:221]
	v_pk_fma_f32 v[214:215], v[78:79], v[64:65], v[226:227] op_sel:[0,1,1] op_sel_hi:[1,1,0]
	v_pk_fma_f32 v[78:79], v[78:79], v[64:65], v[226:227] op_sel:[0,1,1] op_sel_hi:[1,1,0] neg_lo:[1,0,0] neg_hi:[1,0,0]
	v_pk_fma_f32 v[218:219], v[192:193], v[222:223], v[92:93] neg_lo:[0,0,1] neg_hi:[0,0,1]
	v_pk_fma_f32 v[92:93], v[192:193], v[66:67], v[92:93]
	v_pk_fma_f32 v[192:193], v[190:191], v[224:225], v[90:91] neg_lo:[0,0,1] neg_hi:[0,0,1]
	v_pk_fma_f32 v[90:91], v[190:191], v[48:49], v[90:91]
	v_mov_b32_e32 v215, v79
	v_mov_b32_e32 v229, v187
	s_waitcnt vmcnt(2)
	v_pk_mul_f32 v[190:191], v[84:85], v[54:55] op_sel:[1,0]
	v_mov_b32_e32 v220, v53
	s_waitcnt vmcnt(1)
	v_mov_b32_e32 v221, v63
	s_waitcnt vmcnt(0)
	v_mov_b32_e32 v222, v59
	v_mov_b32_e32 v223, v61
	;; [unrolled: 1-line block ×4, first 2 shown]
	v_mul_f32_e32 v83, v89, v70
	v_pk_mul_f32 v[224:225], v[0:1], v[56:57] op_sel_hi:[0,1]
	v_mov_b32_e32 v230, v52
	v_mov_b32_e32 v231, v60
	;; [unrolled: 1-line block ×6, first 2 shown]
	v_pk_add_f32 v[240:241], v[214:215], v[228:229]
	v_pk_add_f32 v[214:215], v[214:215], v[228:229] neg_lo:[0,1] neg_hi:[0,1]
	v_pk_fma_f32 v[228:229], v[84:85], v[54:55], v[190:191] op_sel:[0,0,1] op_sel_hi:[1,1,0] neg_lo:[0,0,1] neg_hi:[0,0,1]
	v_pk_fma_f32 v[84:85], v[84:85], v[54:55], v[190:191] op_sel:[0,0,1] op_sel_hi:[0,1,0]
	v_pk_mul_f32 v[190:191], v[80:81], v[220:221]
	v_pk_mul_f32 v[220:221], v[74:75], v[222:223]
	;; [unrolled: 1-line block ×3, first 2 shown]
	v_mul_f32_e32 v89, v88, v71
	v_mov_b32_e32 v236, v59
	v_mov_b32_e32 v237, v63
	;; [unrolled: 1-line block ×3, first 2 shown]
	v_pk_fma_f32 v[80:81], v[82:83], v[56:57], v[224:225] op_sel:[0,0,1] op_sel_hi:[1,1,0] neg_lo:[0,0,1] neg_hi:[0,0,1]
	v_pk_fma_f32 v[222:223], v[82:83], v[56:57], v[224:225] op_sel:[0,0,1] op_sel_hi:[0,1,0]
	v_pk_fma_f32 v[86:87], v[86:87], v[230:231], v[188:189]
	v_pk_fma_f32 v[188:189], v[182:183], v[232:233], v[190:191] neg_lo:[0,0,1] neg_hi:[0,0,1]
	v_pk_fma_f32 v[190:191], v[184:185], v[234:235], v[220:221] neg_lo:[0,0,1] neg_hi:[0,0,1]
	v_mov_b32_e32 v185, v183
	v_mov_b32_e32 v82, v79
	v_mov_b32_e32 v88, v187
	v_mov_b32_e32 v238, v58
	v_mov_b32_e32 v239, v62
	v_mov_b32_e32 v93, v219
	v_pk_mul_f32 v[182:183], v[184:185], v[236:237]
	v_mov_b32_e32 v91, v193
	v_pk_add_f32 v[78:79], v[82:83], v[88:89]
	v_pk_add_f32 v[82:83], v[216:217], v[94:95]
	v_pk_fma_f32 v[182:183], v[74:75], v[238:239], v[182:183]
	v_pk_add_f32 v[184:185], v[92:93], v[90:91]
	v_mov_b32_e32 v75, v216
	v_mov_b32_e32 v74, v79
	v_mov_b32_e32 v89, v94
	v_mov_b32_e32 v88, v83
	v_pk_add_f32 v[90:91], v[92:93], v[90:91] neg_lo:[0,1] neg_hi:[0,1]
	v_pk_add_f32 v[88:89], v[74:75], v[88:89] neg_lo:[0,1] neg_hi:[0,1]
	v_mov_b32_e32 v74, v193
	v_mov_b32_e32 v75, v184
	;; [unrolled: 1-line block ×4, first 2 shown]
	v_pk_add_f32 v[74:75], v[74:75], v[92:93]
	v_pk_add_f32 v[92:93], v[82:83], v[78:79]
	v_mov_b32_e32 v229, v85
	v_mov_b32_e32 v83, v93
	;; [unrolled: 1-line block ×3, first 2 shown]
	v_pk_add_f32 v[92:93], v[92:93], v[74:75]
	v_mov_b32_e32 v75, v184
	v_pk_add_f32 v[94:95], v[76:77], v[92:93]
	v_mov_b32_e32 v76, v214
	v_mov_b32_e32 v77, v91
	v_pk_add_f32 v[186:187], v[76:77], v[88:89] neg_lo:[0,1] neg_hi:[0,1]
	v_mov_b32_e32 v76, v88
	v_mov_b32_e32 v77, v215
	v_pk_add_f32 v[76:77], v[76:77], v[90:91] neg_lo:[0,1] neg_hi:[0,1]
	v_pk_add_f32 v[218:219], v[78:79], v[74:75] neg_lo:[0,1] neg_hi:[0,1]
	v_pk_mul_f32 v[192:193], v[76:77], s[10:11]
	v_pk_add_f32 v[76:77], v[90:91], v[88:89]
	s_mov_b32 s10, 0xbf955555
	v_pk_add_f32 v[216:217], v[76:77], v[214:215]
	v_mov_b32_e32 v76, v74
	v_mov_b32_e32 v77, v240
	v_pk_add_f32 v[76:77], v[76:77], v[82:83] neg_lo:[0,1] neg_hi:[0,1]
	v_pk_fma_f32 v[92:93], v[92:93], s[10:11], v[94:95] op_sel_hi:[1,0,1]
	v_pk_mul_f32 v[220:221], v[76:77], s[16:17]
	v_pk_fma_f32 v[76:77], v[186:187], s[18:19], v[192:193]
	v_pk_fma_f32 v[74:75], v[218:219], s[20:21], v[220:221]
	v_pk_fma_f32 v[224:225], v[216:217], s[14:15], v[76:77] op_sel_hi:[1,0,1]
	v_pk_add_f32 v[74:75], v[74:75], v[92:93]
	v_mov_b32_e32 v83, v184
	v_pk_add_f32 v[76:77], v[74:75], v[224:225]
	v_pk_add_f32 v[74:75], v[74:75], v[224:225] neg_lo:[0,1] neg_hi:[0,1]
	v_mov_b32_e32 v224, v76
	v_mov_b32_e32 v225, v75
	;; [unrolled: 1-line block ×3, first 2 shown]
	ds_write2_b64 v96, v[94:95], v[224:225] offset1:108
	v_pk_add_f32 v[94:95], v[188:189], v[190:191] neg_lo:[0,1] neg_hi:[0,1]
	v_pk_add_f32 v[188:189], v[190:191], v[188:189]
	v_mov_b32_e32 v190, v86
	v_mov_b32_e32 v191, v183
	v_pk_add_f32 v[224:225], v[86:87], v[182:183]
	v_mov_b32_e32 v183, v87
	v_mov_b32_e32 v81, v223
	;; [unrolled: 1-line block ×3, first 2 shown]
	v_pk_add_f32 v[78:79], v[82:83], v[78:79] neg_lo:[0,1] neg_hi:[0,1]
	s_mov_b32 s10, 0x3f3bfb3b
	v_pk_mul_f32 v[82:83], v[186:187], s[18:19]
	v_pk_mul_f32 v[84:85], v[218:219], s[20:21]
	v_pk_add_f32 v[182:183], v[190:191], v[182:183] neg_lo:[0,1] neg_hi:[0,1]
	v_pk_add_f32 v[190:191], v[228:229], v[80:81] neg_lo:[0,1] neg_hi:[0,1]
	v_pk_add_f32 v[222:223], v[228:229], v[80:81]
	v_pk_add_f32 v[80:81], v[90:91], v[214:215] neg_lo:[0,1] neg_hi:[0,1]
	s_mov_b32 s11, 0x3f955555
	v_mov_b32_e32 v86, v84
	v_mov_b32_e32 v87, v221
	;; [unrolled: 1-line block ×6, first 2 shown]
	v_pk_fma_f32 v[86:87], v[78:79], s[10:11], v[86:87] op_sel_hi:[1,0,1] neg_lo:[1,0,1] neg_hi:[1,0,1]
	v_pk_fma_f32 v[88:89], v[80:81], s[22:23], v[88:89] op_sel_hi:[1,0,1] neg_lo:[1,0,1] neg_hi:[1,0,1]
	;; [unrolled: 1-line block ×4, first 2 shown]
	v_pk_add_f32 v[86:87], v[86:87], v[92:93]
	v_pk_fma_f32 v[88:89], v[216:217], s[14:15], v[88:89] op_sel_hi:[1,0,1]
	v_pk_add_f32 v[78:79], v[78:79], v[92:93]
	v_pk_fma_f32 v[80:81], v[216:217], s[14:15], v[80:81] op_sel_hi:[1,0,1]
	v_pk_add_f32 v[90:91], v[86:87], v[88:89]
	v_pk_add_f32 v[184:185], v[86:87], v[88:89] neg_lo:[0,1] neg_hi:[0,1]
	v_pk_add_f32 v[92:93], v[78:79], v[80:81] neg_lo:[0,1] neg_hi:[0,1]
	v_pk_add_f32 v[186:187], v[78:79], v[80:81]
	v_mov_b32_e32 v82, v90
	v_mov_b32_e32 v83, v185
	;; [unrolled: 1-line block ×5, first 2 shown]
	v_pk_add_f32 v[80:81], v[222:223], v[188:189]
	ds_write2_b64 v213, v[82:83], v[78:79] offset0:88 offset1:196
	v_pk_add_f32 v[78:79], v[222:223], v[2:3]
	v_mov_b32_e32 v3, v80
	v_pk_add_f32 v[78:79], v[78:79], v[224:225]
	v_pk_add_f32 v[192:193], v[2:3], v[188:189]
	v_mov_b32_e32 v0, v223
	v_mov_b32_e32 v78, v193
	v_pk_add_f32 v[86:87], v[0:1], v[224:225] neg_lo:[0,1] neg_hi:[0,1]
	v_pk_add_f32 v[82:83], v[72:73], v[78:79]
	v_mov_b32_e32 v87, v79
	v_mov_b32_e32 v72, v95
	;; [unrolled: 1-line block ×5, first 2 shown]
	v_pk_add_f32 v[72:73], v[94:95], v[72:73] neg_lo:[0,1] neg_hi:[0,1]
	v_pk_add_f32 v[80:81], v[190:191], v[78:79] op_sel:[1,0] op_sel_hi:[0,1] neg_lo:[0,1] neg_hi:[0,1]
	v_pk_mul_f32 v[80:81], v[80:81], s[22:23] op_sel_hi:[1,0]
	v_pk_mul_f32 v[84:85], v[72:73], s[18:19]
	v_xor_b32_e32 v88, 0x80000000, v81
	v_mov_b32_e32 v89, v84
	v_pk_fma_f32 v[218:219], v[72:73], s[18:19], v[88:89] neg_lo:[1,0,0] neg_hi:[1,0,0]
	v_pk_fma_f32 v[72:73], v[72:73], s[18:19], v[88:89]
	v_mov_b32_e32 v94, v183
	v_mov_b32_e32 v219, v73
	v_pk_add_f32 v[72:73], v[94:95], v[190:191] op_sel:[0,1] op_sel_hi:[1,0]
	v_mov_b32_e32 v190, v183
	v_pk_add_f32 v[182:183], v[182:183], v[190:191] neg_lo:[0,1] neg_hi:[0,1]
	v_mov_b32_e32 v187, v93
	v_pk_mul_f32 v[92:93], v[182:183], s[18:19]
	v_sub_f32_e32 v84, v224, v225
	v_mov_b32_e32 v224, v189
	v_pk_add_f32 v[88:89], v[222:223], v[188:189] neg_lo:[0,1] neg_hi:[0,1]
	v_mov_b32_e32 v75, v92
	v_pk_add_f32 v[94:95], v[72:73], v[78:79]
	v_pk_add_f32 v[190:191], v[224:225], v[222:223] neg_lo:[0,1] neg_hi:[0,1]
	v_mov_b32_e32 v89, v193
	v_mov_b32_e32 v185, v91
	v_sub_f32_e32 v188, v188, v189
	v_pk_fma_f32 v[90:91], v[182:183], s[18:19], v[74:75]
	v_pk_fma_f32 v[192:193], v[182:183], s[18:19], v[80:81] neg_lo:[1,0,1] neg_hi:[1,0,1]
	v_mul_f32_e32 v76, 0xbf4a47b2, v84
	v_mov_b32_e32 v75, v77
	v_mov_b32_e32 v77, v83
	;; [unrolled: 1-line block ×3, first 2 shown]
	v_pk_mul_f32 v[90:91], v[190:191], s[16:17] op_sel_hi:[1,0]
	v_pk_mul_f32 v[182:183], v[94:95], s[14:15] op_sel_hi:[1,0]
	v_pk_fma_f32 v[94:95], v[86:87], s[10:11], v[76:77] neg_lo:[1,0,0] neg_hi:[1,0,0]
	v_mul_f32_e32 v76, 0xbf4a47b2, v188
	v_mov_b32_e32 v77, v82
	v_add_u32_e32 v214, 0xc00, v96
	ds_write_b64 v96, v[74:75] offset:5184
	v_fmamk_f32 v75, v188, 0x3f4a47b2, v90
	v_pk_fma_f32 v[188:189], v[88:89], s[10:11], v[76:77] neg_lo:[1,0,0] neg_hi:[1,0,0]
	ds_write2_b64 v214, v[186:187], v[184:185] offset0:48 offset1:156
	v_fmamk_f32 v187, v84, 0x3f4a47b2, v91
	v_mov_b32_e32 v186, v95
	v_mov_b32_e32 v74, v189
	v_pk_add_f32 v[184:185], v[182:183], v[218:219] op_sel:[1,0]
	v_pk_add_f32 v[186:187], v[94:95], v[186:187]
	v_pk_add_f32 v[190:191], v[188:189], v[74:75]
	v_pk_add_f32 v[192:193], v[182:183], v[192:193] op_sel_hi:[0,1]
	v_lshlrev_b32_e32 v216, 3, v135
	v_lshlrev_b32_e32 v215, 4, v131
	v_mov_b32_e32 v78, v128
	v_mov_b32_e32 v79, v128
	;; [unrolled: 1-line block ×12, first 2 shown]
	v_pk_add_f32 v[76:77], v[184:185], v[186:187]
	v_pk_add_f32 v[74:75], v[190:191], v[192:193] neg_lo:[0,1] neg_hi:[0,1]
	s_and_saveexec_b64 s[14:15], s[0:1]
	s_cbranch_execz .LBB0_7
; %bb.6:
	v_mov_b32_e32 v84, v193
	v_mov_b32_e32 v92, v191
	v_pk_add_f32 v[218:219], v[84:85], v[92:93]
	v_pk_add_f32 v[220:221], v[186:187], v[184:185] neg_lo:[0,1] neg_hi:[0,1]
	v_pk_mul_f32 v[86:87], v[86:87], s[10:11]
	v_mov_b32_e32 v219, v221
	v_pk_mul_f32 v[88:89], v[88:89], s[10:11]
	ds_write2_b64 v96, v[82:83], v[218:219] offset0:63 offset1:171
	v_mov_b32_e32 v83, v186
	v_mov_b32_e32 v186, v190
	;; [unrolled: 1-line block ×3, first 2 shown]
	v_pk_add_f32 v[184:185], v[192:193], v[190:191]
	v_pk_add_f32 v[82:83], v[82:83], v[186:187] neg_lo:[0,1] neg_hi:[0,1]
	v_mov_b32_e32 v84, v93
	v_mov_b32_e32 v89, v86
	;; [unrolled: 1-line block ×3, first 2 shown]
	v_pk_add_f32 v[80:81], v[80:81], v[84:85] neg_lo:[0,1] neg_hi:[0,1]
	v_pk_add_f32 v[82:83], v[88:89], v[90:91] neg_lo:[0,1] neg_hi:[0,1]
	v_mov_b32_e32 v94, v189
	v_pk_add_f32 v[80:81], v[182:183], v[80:81]
	v_pk_add_f32 v[82:83], v[82:83], v[94:95]
	s_nop 0
	v_pk_add_f32 v[84:85], v[82:83], v[80:81] neg_lo:[0,1] neg_hi:[0,1]
	v_pk_add_f32 v[80:81], v[82:83], v[80:81]
	v_mov_b32_e32 v82, v84
	v_mov_b32_e32 v83, v81
	v_add_u32_e32 v81, 0x800, v96
	ds_write2_b64 v81, v[184:185], v[82:83] offset0:23 offset1:131
	v_mov_b32_e32 v81, v85
	v_mov_b32_e32 v82, v74
	;; [unrolled: 1-line block ×3, first 2 shown]
	ds_write2_b64 v214, v[80:81], v[82:83] offset0:111 offset1:219
	v_mov_b32_e32 v80, v75
	v_mov_b32_e32 v81, v77
	ds_write_b64 v96, v[80:81] offset:5688
.LBB0_7:
	s_or_b64 exec, exec, s[14:15]
	v_lshlrev_b32_e32 v80, 3, v114
	v_mov_b32_e32 v81, 0
	v_lshl_add_u64 v[80:81], s[8:9], 0, v[80:81]
	s_mov_b64 s[8:9], 0x17a0
	v_lshl_add_u64 v[82:83], v[80:81], 0, s[8:9]
	v_add_co_u32_e32 v84, vcc, 0x1000, v80
	s_waitcnt lgkmcnt(0)
	; wave barrier
	s_waitcnt lgkmcnt(0)
	global_load_dwordx2 v[86:87], v[82:83], off offset:504
	v_addc_co_u32_e32 v85, vcc, 0, v81, vcc
	global_load_dwordx2 v[84:85], v[84:85], off offset:1952
	s_nop 0
	global_load_dwordx2 v[186:187], v[82:83], off offset:3024
	s_movk_i32 s8, 0x2000
	v_add_co_u32_e32 v80, vcc, s8, v80
	global_load_dwordx2 v[188:189], v[82:83], off offset:3528
	global_load_dwordx2 v[190:191], v[82:83], off offset:4032
	;; [unrolled: 1-line block ×4, first 2 shown]
	v_addc_co_u32_e32 v81, vcc, 0, v81, vcc
	global_load_dwordx2 v[220:221], v[80:81], off offset:2392
	global_load_dwordx2 v[222:223], v[82:83], off offset:2016
	global_load_dwordx2 v[224:225], v[80:81], off offset:2896
	global_load_dwordx2 v[226:227], v[82:83], off offset:2520
	global_load_dwordx2 v[228:229], v[80:81], off offset:3400
	ds_read2_b64 v[80:83], v96 offset1:63
	v_add_u32_e32 v217, 0x800, v96
	v_add_u32_e32 v234, 0x1000, v96
	s_mov_b32 s8, 0x3f5db3d7
	s_waitcnt vmcnt(11) lgkmcnt(0)
	v_mul_f32_e32 v88, v83, v87
	v_mul_f32_e32 v231, v82, v87
	s_waitcnt vmcnt(10)
	v_mul_f32_e32 v89, v81, v85
	v_mul_f32_e32 v87, v80, v85
	v_fma_f32 v230, v82, v86, -v88
	v_fmac_f32_e32 v231, v83, v86
	v_fma_f32 v86, v80, v84, -v89
	v_fmac_f32_e32 v87, v81, v84
	ds_write_b64 v96, v[86:87]
	ds_read2_b64 v[80:83], v217 offset0:122 offset1:185
	ds_read2_b64 v[84:87], v96 offset0:126 offset1:189
	;; [unrolled: 1-line block ×5, first 2 shown]
	s_waitcnt vmcnt(9) lgkmcnt(4)
	v_mul_f32_e32 v232, v81, v187
	v_mul_f32_e32 v233, v80, v187
	s_waitcnt vmcnt(8)
	v_mul_f32_e32 v235, v83, v189
	v_mul_f32_e32 v187, v82, v189
	s_waitcnt vmcnt(6) lgkmcnt(3)
	v_mul_f32_e32 v236, v85, v193
	v_mul_f32_e32 v189, v84, v193
	s_waitcnt lgkmcnt(2)
	v_mul_f32_e32 v237, v89, v191
	v_mul_f32_e32 v193, v88, v191
	s_waitcnt vmcnt(5)
	v_mul_f32_e32 v238, v87, v219
	v_mul_f32_e32 v191, v86, v219
	s_waitcnt vmcnt(4)
	v_mul_f32_e32 v239, v91, v221
	v_mul_f32_e32 v219, v90, v221
	s_waitcnt vmcnt(3) lgkmcnt(1)
	v_mul_f32_e32 v240, v93, v223
	v_mul_f32_e32 v221, v92, v223
	s_waitcnt vmcnt(2) lgkmcnt(0)
	v_mul_f32_e32 v241, v183, v225
	v_mul_f32_e32 v223, v182, v225
	s_waitcnt vmcnt(1)
	v_mul_f32_e32 v242, v95, v227
	v_mul_f32_e32 v225, v94, v227
	s_waitcnt vmcnt(0)
	v_mul_f32_e32 v243, v185, v229
	v_mul_f32_e32 v227, v184, v229
	v_fma_f32 v232, v80, v186, -v232
	v_fmac_f32_e32 v233, v81, v186
	v_fma_f32 v186, v82, v188, -v235
	v_fmac_f32_e32 v187, v83, v188
	;; [unrolled: 2-line block ×10, first 2 shown]
	ds_write2_b64 v96, v[230:231], v[188:189] offset0:63 offset1:126
	ds_write2_b64 v217, v[186:187], v[192:193] offset0:185 offset1:248
	;; [unrolled: 1-line block ×5, first 2 shown]
	ds_write_b64 v96, v[226:227] offset:5544
	s_waitcnt lgkmcnt(0)
	; wave barrier
	s_waitcnt lgkmcnt(0)
	ds_read2_b64 v[80:83], v96 offset1:63
	ds_read2_b64 v[84:87], v217 offset0:122 offset1:185
	ds_read2_b64 v[88:91], v96 offset0:126 offset1:189
	ds_read2_b64 v[92:95], v214 offset0:120 offset1:183
	ds_read2_b64 v[186:189], v213 offset0:124 offset1:187
	ds_read2_b64 v[190:193], v234 offset0:118 offset1:181
	s_waitcnt lgkmcnt(0)
	v_pk_add_f32 v[184:185], v[80:81], v[84:85] neg_lo:[0,1] neg_hi:[0,1]
	v_pk_add_f32 v[84:85], v[82:83], v[86:87] neg_lo:[0,1] neg_hi:[0,1]
	;; [unrolled: 1-line block ×3, first 2 shown]
	v_pk_fma_f32 v[182:183], v[80:81], 2.0, v[184:185] op_sel_hi:[1,0,1] neg_lo:[0,0,1] neg_hi:[0,0,1]
	v_pk_fma_f32 v[218:219], v[88:89], 2.0, v[220:221] op_sel_hi:[1,0,1] neg_lo:[0,0,1] neg_hi:[0,0,1]
	v_pk_add_f32 v[88:89], v[90:91], v[94:95] neg_lo:[0,1] neg_hi:[0,1]
	v_pk_fma_f32 v[82:83], v[82:83], 2.0, v[84:85] op_sel_hi:[1,0,1] neg_lo:[0,0,1] neg_hi:[0,0,1]
	v_pk_fma_f32 v[86:87], v[90:91], 2.0, v[88:89] op_sel_hi:[1,0,1] neg_lo:[0,0,1] neg_hi:[0,0,1]
	v_pk_add_f32 v[92:93], v[186:187], v[190:191] neg_lo:[0,1] neg_hi:[0,1]
	v_pk_add_f32 v[190:191], v[188:189], v[192:193] neg_lo:[0,1] neg_hi:[0,1]
	v_pk_fma_f32 v[90:91], v[186:187], 2.0, v[92:93] op_sel_hi:[1,0,1] neg_lo:[0,0,1] neg_hi:[0,0,1]
	v_pk_fma_f32 v[188:189], v[188:189], 2.0, v[190:191] op_sel_hi:[1,0,1] neg_lo:[0,0,1] neg_hi:[0,0,1]
	; wave barrier
	ds_write_b128 v97, v[182:185]
	ds_write_b128 v194, v[82:85]
	;; [unrolled: 1-line block ×6, first 2 shown]
	s_waitcnt lgkmcnt(0)
	; wave barrier
	s_waitcnt lgkmcnt(0)
	ds_read2_b64 v[80:83], v234 offset0:118 offset1:181
	ds_read2_b64 v[84:87], v213 offset0:124 offset1:187
	s_waitcnt lgkmcnt(1)
	v_pk_mul_f32 v[88:89], v[136:137], v[82:83]
	s_nop 0
	v_pk_fma_f32 v[90:91], v[78:79], v[82:83], v[88:89] op_sel:[0,0,1] op_sel_hi:[1,1,0]
	v_pk_fma_f32 v[78:79], v[78:79], v[82:83], v[88:89] op_sel:[0,0,1] op_sel_hi:[1,1,0] neg_lo:[0,0,1] neg_hi:[0,0,1]
	s_nop 0
	v_mov_b32_e32 v91, v79
	v_pk_mul_f32 v[78:79], v[126:127], v[80:81]
	s_waitcnt lgkmcnt(0)
	v_pk_add_f32 v[88:89], v[86:87], v[90:91] neg_lo:[0,1] neg_hi:[0,1]
	v_pk_fma_f32 v[82:83], v[72:73], v[80:81], v[78:79] op_sel:[0,0,1] op_sel_hi:[1,1,0]
	v_pk_fma_f32 v[90:91], v[72:73], v[80:81], v[78:79] op_sel:[0,0,1] op_sel_hi:[1,1,0] neg_lo:[0,0,1] neg_hi:[0,0,1]
	ds_read2_b64 v[78:81], v214 offset0:120 offset1:183
	v_mov_b32_e32 v83, v91
	v_pk_add_f32 v[90:91], v[84:85], v[82:83] neg_lo:[0,1] neg_hi:[0,1]
	v_pk_fma_f32 v[86:87], v[86:87], 2.0, v[88:89] op_sel_hi:[1,0,1] neg_lo:[0,0,1] neg_hi:[0,0,1]
	v_pk_fma_f32 v[92:93], v[84:85], 2.0, v[90:91] op_sel_hi:[1,0,1] neg_lo:[0,0,1] neg_hi:[0,0,1]
	ds_read2_b64 v[82:85], v96 offset0:126 offset1:189
	s_waitcnt lgkmcnt(1)
	v_pk_mul_f32 v[94:95], v[134:135], v[80:81]
	s_nop 0
	v_pk_fma_f32 v[134:135], v[132:133], v[80:81], v[94:95] op_sel:[0,0,1] op_sel_hi:[1,1,0]
	v_pk_fma_f32 v[80:81], v[132:133], v[80:81], v[94:95] op_sel:[0,0,1] op_sel_hi:[1,1,0] neg_lo:[0,0,1] neg_hi:[0,0,1]
	s_nop 0
	v_mov_b32_e32 v135, v81
	s_waitcnt lgkmcnt(0)
	v_pk_add_f32 v[94:95], v[84:85], v[134:135] neg_lo:[0,1] neg_hi:[0,1]
	v_pk_mul_f32 v[80:81], v[126:127], v[78:79]
	v_pk_fma_f32 v[132:133], v[84:85], 2.0, v[94:95] op_sel_hi:[1,0,1] neg_lo:[0,0,1] neg_hi:[0,0,1]
	v_pk_fma_f32 v[84:85], v[72:73], v[78:79], v[80:81] op_sel:[0,0,1] op_sel_hi:[1,1,0]
	v_pk_fma_f32 v[134:135], v[72:73], v[78:79], v[80:81] op_sel:[0,0,1] op_sel_hi:[1,1,0] neg_lo:[0,0,1] neg_hi:[0,0,1]
	ds_read2_b64 v[78:81], v217 offset0:122 offset1:185
	v_mov_b32_e32 v85, v135
	v_pk_add_f32 v[134:135], v[82:83], v[84:85] neg_lo:[0,1] neg_hi:[0,1]
	s_waitcnt lgkmcnt(0)
	v_pk_mul_f32 v[128:129], v[128:129], v[80:81]
	v_pk_fma_f32 v[136:137], v[82:83], 2.0, v[134:135] op_sel_hi:[1,0,1] neg_lo:[0,0,1] neg_hi:[0,0,1]
	ds_read2_b64 v[82:85], v96 offset1:63
	v_pk_mul_f32 v[126:127], v[126:127], v[78:79]
	v_pk_fma_f32 v[182:183], v[130:131], v[80:81], v[128:129] op_sel:[0,0,1] op_sel_hi:[1,1,0]
	v_pk_fma_f32 v[80:81], v[130:131], v[80:81], v[128:129] op_sel:[0,0,1] op_sel_hi:[1,1,0] neg_lo:[0,0,1] neg_hi:[0,0,1]
	v_pk_fma_f32 v[128:129], v[72:73], v[78:79], v[126:127] op_sel:[0,0,1] op_sel_hi:[1,1,0]
	v_pk_fma_f32 v[72:73], v[72:73], v[78:79], v[126:127] op_sel:[0,0,1] op_sel_hi:[1,1,0] neg_lo:[0,0,1] neg_hi:[0,0,1]
	v_mov_b32_e32 v183, v81
	v_mov_b32_e32 v129, v73
	s_waitcnt lgkmcnt(0)
	v_pk_add_f32 v[80:81], v[84:85], v[182:183] neg_lo:[0,1] neg_hi:[0,1]
	v_pk_add_f32 v[72:73], v[82:83], v[128:129] neg_lo:[0,1] neg_hi:[0,1]
	v_pk_fma_f32 v[84:85], v[84:85], 2.0, v[80:81] op_sel_hi:[1,0,1] neg_lo:[0,0,1] neg_hi:[0,0,1]
	v_pk_fma_f32 v[78:79], v[82:83], 2.0, v[72:73] op_sel_hi:[1,0,1] neg_lo:[0,0,1] neg_hi:[0,0,1]
	s_waitcnt lgkmcnt(0)
	; wave barrier
	ds_write2_b64 v196, v[78:79], v[72:73] offset1:2
	ds_write2_b64 v197, v[84:85], v[80:81] offset1:2
	;; [unrolled: 1-line block ×6, first 2 shown]
	s_waitcnt lgkmcnt(0)
	; wave barrier
	s_waitcnt lgkmcnt(0)
	ds_read2_b64 v[78:81], v217 offset0:122 offset1:185
	ds_read2_b64 v[82:85], v96 offset0:126 offset1:189
	;; [unrolled: 1-line block ×3, first 2 shown]
	s_waitcnt lgkmcnt(2)
	v_pk_mul_f32 v[12:13], v[12:13], v[80:81]
	v_pk_mul_f32 v[8:9], v[8:9], v[78:79]
	v_pk_fma_f32 v[72:73], v[152:153], v[80:81], v[12:13] op_sel:[0,0,1] op_sel_hi:[1,1,0]
	v_pk_fma_f32 v[12:13], v[152:153], v[80:81], v[12:13] op_sel:[0,0,1] op_sel_hi:[1,1,0] neg_lo:[0,0,1] neg_hi:[0,0,1]
	v_pk_fma_f32 v[92:93], v[148:149], v[78:79], v[8:9] op_sel:[0,0,1] op_sel_hi:[1,1,0]
	v_pk_fma_f32 v[8:9], v[148:149], v[78:79], v[8:9] op_sel:[0,0,1] op_sel_hi:[1,1,0] neg_lo:[0,0,1] neg_hi:[0,0,1]
	v_mov_b32_e32 v73, v13
	s_waitcnt lgkmcnt(0)
	v_pk_mul_f32 v[12:13], v[150:151], v[88:89]
	v_mov_b32_e32 v93, v9
	v_pk_mul_f32 v[8:9], v[146:147], v[86:87]
	v_pk_fma_f32 v[90:91], v[14:15], v[88:89], v[12:13] op_sel:[0,0,1] op_sel_hi:[1,1,0]
	v_pk_fma_f32 v[12:13], v[14:15], v[88:89], v[12:13] op_sel:[0,0,1] op_sel_hi:[1,1,0] neg_lo:[0,0,1] neg_hi:[0,0,1]
	v_pk_fma_f32 v[94:95], v[10:11], v[86:87], v[8:9] op_sel:[0,0,1] op_sel_hi:[1,1,0]
	v_pk_fma_f32 v[8:9], v[10:11], v[86:87], v[8:9] op_sel:[0,0,1] op_sel_hi:[1,1,0] neg_lo:[0,0,1] neg_hi:[0,0,1]
	v_mov_b32_e32 v91, v13
	v_pk_add_f32 v[12:13], v[84:85], v[72:73]
	v_mov_b32_e32 v95, v9
	ds_read2_b64 v[8:11], v213 offset0:124 offset1:187
	v_pk_add_f32 v[88:89], v[12:13], v[90:91]
	v_pk_add_f32 v[12:13], v[82:83], v[92:93]
	s_waitcnt lgkmcnt(0)
	v_pk_mul_f32 v[4:5], v[4:5], v[10:11]
	v_pk_add_f32 v[86:87], v[12:13], v[94:95]
	ds_read2_b64 v[12:15], v96 offset1:63
	ds_read2_b64 v[78:81], v214 offset0:120 offset1:183
	v_pk_fma_f32 v[126:127], v[144:145], v[10:11], v[4:5] op_sel:[0,0,1] op_sel_hi:[1,1,0]
	v_pk_fma_f32 v[4:5], v[144:145], v[10:11], v[4:5] op_sel:[0,0,1] op_sel_hi:[1,1,0] neg_lo:[0,0,1] neg_hi:[0,0,1]
	v_pk_mul_f32 v[0:1], v[0:1], v[8:9]
	v_mov_b32_e32 v127, v5
	s_waitcnt lgkmcnt(0)
	v_pk_mul_f32 v[4:5], v[142:143], v[80:81]
	s_nop 0
	v_pk_fma_f32 v[10:11], v[6:7], v[80:81], v[4:5] op_sel:[0,0,1] op_sel_hi:[1,1,0]
	v_pk_fma_f32 v[4:5], v[6:7], v[80:81], v[4:5] op_sel:[0,0,1] op_sel_hi:[1,1,0] neg_lo:[0,0,1] neg_hi:[0,0,1]
	v_pk_fma_f32 v[6:7], v[140:141], v[8:9], v[0:1] op_sel:[0,0,1] op_sel_hi:[1,1,0]
	v_pk_fma_f32 v[0:1], v[140:141], v[8:9], v[0:1] op_sel:[0,0,1] op_sel_hi:[1,1,0] neg_lo:[0,0,1] neg_hi:[0,0,1]
	v_mov_b32_e32 v11, v5
	v_mov_b32_e32 v7, v1
	v_pk_mul_f32 v[0:1], v[138:139], v[78:79]
	; wave barrier
	s_nop 0
	v_pk_fma_f32 v[8:9], v[2:3], v[78:79], v[0:1] op_sel:[0,0,1] op_sel_hi:[1,1,0]
	v_pk_fma_f32 v[0:1], v[2:3], v[78:79], v[0:1] op_sel:[0,0,1] op_sel_hi:[1,1,0] neg_lo:[0,0,1] neg_hi:[0,0,1]
	v_pk_add_f32 v[4:5], v[14:15], v[126:127]
	v_mov_b32_e32 v9, v1
	v_pk_add_f32 v[0:1], v[12:13], v[6:7]
	v_pk_add_f32 v[2:3], v[6:7], v[8:9]
	v_pk_add_f32 v[6:7], v[6:7], v[8:9] neg_lo:[0,1] neg_hi:[0,1]
	v_pk_fma_f32 v[2:3], v[2:3], 0.5, v[12:13] op_sel_hi:[1,0,1] neg_lo:[1,0,0] neg_hi:[1,0,0]
	v_pk_mul_f32 v[6:7], v[6:7], s[8:9] op_sel_hi:[1,0]
	v_pk_add_f32 v[0:1], v[0:1], v[8:9]
	v_pk_add_f32 v[8:9], v[2:3], v[6:7] op_sel:[0,1] op_sel_hi:[1,0] neg_lo:[0,1] neg_hi:[0,1]
	v_pk_add_f32 v[2:3], v[2:3], v[6:7] op_sel:[0,1] op_sel_hi:[1,0]
	v_mov_b32_e32 v6, v8
	v_mov_b32_e32 v7, v3
	;; [unrolled: 1-line block ×3, first 2 shown]
	ds_write2_b64 v205, v[0:1], v[6:7] offset1:4
	ds_write_b64 v205, v[2:3] offset:64
	v_pk_add_f32 v[0:1], v[126:127], v[10:11]
	v_pk_add_f32 v[2:3], v[126:127], v[10:11] neg_lo:[0,1] neg_hi:[0,1]
	v_pk_fma_f32 v[0:1], v[0:1], 0.5, v[14:15] op_sel_hi:[1,0,1] neg_lo:[1,0,0] neg_hi:[1,0,0]
	v_pk_mul_f32 v[2:3], v[2:3], s[8:9] op_sel_hi:[1,0]
	v_pk_add_f32 v[4:5], v[4:5], v[10:11]
	v_pk_add_f32 v[6:7], v[0:1], v[2:3] op_sel:[0,1] op_sel_hi:[1,0] neg_lo:[0,1] neg_hi:[0,1]
	v_pk_add_f32 v[0:1], v[0:1], v[2:3] op_sel:[0,1] op_sel_hi:[1,0]
	v_mov_b32_e32 v2, v6
	v_mov_b32_e32 v3, v1
	;; [unrolled: 1-line block ×3, first 2 shown]
	ds_write2_b64 v204, v[4:5], v[2:3] offset1:4
	ds_write_b64 v204, v[0:1] offset:64
	v_pk_add_f32 v[0:1], v[92:93], v[94:95]
	v_pk_add_f32 v[2:3], v[92:93], v[94:95] neg_lo:[0,1] neg_hi:[0,1]
	v_pk_fma_f32 v[0:1], v[0:1], 0.5, v[82:83] op_sel_hi:[1,0,1] neg_lo:[1,0,0] neg_hi:[1,0,0]
	v_pk_mul_f32 v[2:3], v[2:3], s[8:9] op_sel_hi:[1,0]
	s_nop 0
	v_pk_add_f32 v[4:5], v[0:1], v[2:3] op_sel:[0,1] op_sel_hi:[1,0] neg_lo:[0,1] neg_hi:[0,1]
	v_pk_add_f32 v[0:1], v[0:1], v[2:3] op_sel:[0,1] op_sel_hi:[1,0]
	v_mov_b32_e32 v2, v4
	v_mov_b32_e32 v3, v1
	v_mov_b32_e32 v1, v5
	ds_write2_b64 v203, v[86:87], v[2:3] offset1:4
	ds_write_b64 v203, v[0:1] offset:64
	v_pk_add_f32 v[0:1], v[72:73], v[90:91]
	v_pk_add_f32 v[2:3], v[72:73], v[90:91] neg_lo:[0,1] neg_hi:[0,1]
	v_pk_fma_f32 v[0:1], v[0:1], 0.5, v[84:85] op_sel_hi:[1,0,1] neg_lo:[1,0,0] neg_hi:[1,0,0]
	v_pk_mul_f32 v[2:3], v[2:3], s[8:9] op_sel_hi:[1,0]
	s_nop 0
	v_pk_add_f32 v[4:5], v[0:1], v[2:3] op_sel:[0,1] op_sel_hi:[1,0] neg_lo:[0,1] neg_hi:[0,1]
	v_pk_add_f32 v[0:1], v[0:1], v[2:3] op_sel:[0,1] op_sel_hi:[1,0]
	v_mov_b32_e32 v2, v4
	v_mov_b32_e32 v3, v1
	;; [unrolled: 1-line block ×3, first 2 shown]
	ds_write2_b64 v202, v[88:89], v[2:3] offset1:4
	ds_write_b64 v202, v[0:1] offset:64
	s_waitcnt lgkmcnt(0)
	; wave barrier
	s_waitcnt lgkmcnt(0)
	ds_read2_b64 v[0:3], v217 offset0:122 offset1:185
	ds_read2_b64 v[4:7], v96 offset0:126 offset1:189
	;; [unrolled: 1-line block ×3, first 2 shown]
	s_waitcnt lgkmcnt(2)
	v_pk_mul_f32 v[12:13], v[28:29], v[2:3]
	s_nop 0
	v_pk_fma_f32 v[28:29], v[164:165], v[2:3], v[12:13] op_sel:[0,0,1] op_sel_hi:[1,1,0]
	v_pk_fma_f32 v[2:3], v[164:165], v[2:3], v[12:13] op_sel:[0,0,1] op_sel_hi:[1,1,0] neg_lo:[0,0,1] neg_hi:[0,0,1]
	s_nop 0
	v_mov_b32_e32 v29, v3
	s_waitcnt lgkmcnt(0)
	v_pk_mul_f32 v[2:3], v[162:163], v[10:11]
	s_nop 0
	v_pk_fma_f32 v[72:73], v[30:31], v[10:11], v[2:3] op_sel:[0,0,1] op_sel_hi:[1,1,0]
	v_pk_fma_f32 v[2:3], v[30:31], v[10:11], v[2:3] op_sel:[0,0,1] op_sel_hi:[1,1,0] neg_lo:[0,0,1] neg_hi:[0,0,1]
	s_nop 0
	v_mov_b32_e32 v73, v3
	v_pk_add_f32 v[2:3], v[6:7], v[28:29]
	s_nop 0
	v_pk_add_f32 v[30:31], v[2:3], v[72:73]
	v_pk_mul_f32 v[2:3], v[24:25], v[0:1]
	s_nop 0
	v_pk_fma_f32 v[24:25], v[158:159], v[0:1], v[2:3] op_sel:[0,0,1] op_sel_hi:[1,1,0]
	v_pk_fma_f32 v[0:1], v[158:159], v[0:1], v[2:3] op_sel:[0,0,1] op_sel_hi:[1,1,0] neg_lo:[0,0,1] neg_hi:[0,0,1]
	s_nop 0
	v_mov_b32_e32 v25, v1
	v_pk_mul_f32 v[0:1], v[160:161], v[8:9]
	s_nop 0
	v_pk_fma_f32 v[78:79], v[26:27], v[8:9], v[0:1] op_sel:[0,0,1] op_sel_hi:[1,1,0]
	v_pk_fma_f32 v[0:1], v[26:27], v[8:9], v[0:1] op_sel:[0,0,1] op_sel_hi:[1,1,0] neg_lo:[0,0,1] neg_hi:[0,0,1]
	v_pk_add_f32 v[8:9], v[4:5], v[24:25]
	v_mov_b32_e32 v79, v1
	ds_read2_b64 v[0:3], v213 offset0:124 offset1:187
	v_pk_add_f32 v[26:27], v[8:9], v[78:79]
	ds_read2_b64 v[8:11], v96 offset1:63
	ds_read2_b64 v[12:15], v214 offset0:120 offset1:183
	s_waitcnt lgkmcnt(0)
	; wave barrier
	s_waitcnt lgkmcnt(0)
	v_pk_mul_f32 v[20:21], v[20:21], v[2:3]
	s_nop 0
	v_pk_fma_f32 v[80:81], v[156:157], v[2:3], v[20:21] op_sel:[0,0,1] op_sel_hi:[1,1,0]
	v_pk_fma_f32 v[2:3], v[156:157], v[2:3], v[20:21] op_sel:[0,0,1] op_sel_hi:[1,1,0] neg_lo:[0,0,1] neg_hi:[0,0,1]
	s_nop 0
	v_mov_b32_e32 v81, v3
	v_pk_mul_f32 v[2:3], v[168:169], v[14:15]
	s_nop 0
	v_pk_fma_f32 v[20:21], v[22:23], v[14:15], v[2:3] op_sel:[0,0,1] op_sel_hi:[1,1,0]
	v_pk_fma_f32 v[2:3], v[22:23], v[14:15], v[2:3] op_sel:[0,0,1] op_sel_hi:[1,1,0] neg_lo:[0,0,1] neg_hi:[0,0,1]
	v_pk_mul_f32 v[14:15], v[16:17], v[0:1]
	v_mov_b32_e32 v21, v3
	v_pk_fma_f32 v[16:17], v[154:155], v[0:1], v[14:15] op_sel:[0,0,1] op_sel_hi:[1,1,0]
	v_pk_fma_f32 v[0:1], v[154:155], v[0:1], v[14:15] op_sel:[0,0,1] op_sel_hi:[1,1,0] neg_lo:[0,0,1] neg_hi:[0,0,1]
	v_pk_add_f32 v[2:3], v[10:11], v[80:81]
	v_mov_b32_e32 v17, v1
	v_pk_mul_f32 v[0:1], v[166:167], v[12:13]
	v_pk_add_f32 v[2:3], v[2:3], v[20:21]
	v_pk_fma_f32 v[14:15], v[18:19], v[12:13], v[0:1] op_sel:[0,0,1] op_sel_hi:[1,1,0]
	v_pk_fma_f32 v[0:1], v[18:19], v[12:13], v[0:1] op_sel:[0,0,1] op_sel_hi:[1,1,0] neg_lo:[0,0,1] neg_hi:[0,0,1]
	s_nop 0
	v_mov_b32_e32 v15, v1
	v_pk_add_f32 v[12:13], v[16:17], v[14:15]
	v_pk_add_f32 v[0:1], v[8:9], v[16:17]
	v_pk_fma_f32 v[8:9], v[12:13], 0.5, v[8:9] op_sel_hi:[1,0,1] neg_lo:[1,0,0] neg_hi:[1,0,0]
	v_pk_add_f32 v[12:13], v[16:17], v[14:15] neg_lo:[0,1] neg_hi:[0,1]
	v_pk_add_f32 v[0:1], v[0:1], v[14:15]
	v_pk_mul_f32 v[12:13], v[12:13], s[8:9] op_sel_hi:[1,0]
	s_nop 0
	v_pk_add_f32 v[14:15], v[8:9], v[12:13] op_sel:[0,1] op_sel_hi:[1,0] neg_lo:[0,1] neg_hi:[0,1]
	v_pk_add_f32 v[8:9], v[8:9], v[12:13] op_sel:[0,1] op_sel_hi:[1,0]
	v_mov_b32_e32 v12, v14
	v_mov_b32_e32 v13, v9
	v_mov_b32_e32 v9, v15
	ds_write2_b64 v208, v[0:1], v[12:13] offset1:12
	ds_write_b64 v208, v[8:9] offset:192
	v_pk_add_f32 v[0:1], v[80:81], v[20:21]
	v_pk_add_f32 v[8:9], v[80:81], v[20:21] neg_lo:[0,1] neg_hi:[0,1]
	v_pk_fma_f32 v[0:1], v[0:1], 0.5, v[10:11] op_sel_hi:[1,0,1] neg_lo:[1,0,0] neg_hi:[1,0,0]
	v_pk_mul_f32 v[8:9], v[8:9], s[8:9] op_sel_hi:[1,0]
	s_nop 0
	v_pk_add_f32 v[10:11], v[0:1], v[8:9] op_sel:[0,1] op_sel_hi:[1,0] neg_lo:[0,1] neg_hi:[0,1]
	v_pk_add_f32 v[0:1], v[0:1], v[8:9] op_sel:[0,1] op_sel_hi:[1,0]
	v_mov_b32_e32 v8, v10
	v_mov_b32_e32 v9, v1
	v_mov_b32_e32 v1, v11
	ds_write2_b64 v209, v[2:3], v[8:9] offset1:12
	ds_write_b64 v209, v[0:1] offset:192
	v_pk_add_f32 v[0:1], v[24:25], v[78:79]
	v_pk_add_f32 v[2:3], v[24:25], v[78:79] neg_lo:[0,1] neg_hi:[0,1]
	v_pk_fma_f32 v[0:1], v[0:1], 0.5, v[4:5] op_sel_hi:[1,0,1] neg_lo:[1,0,0] neg_hi:[1,0,0]
	;; [unrolled: 12-line block ×3, first 2 shown]
	v_pk_mul_f32 v[2:3], v[2:3], s[8:9] op_sel_hi:[1,0]
	s_nop 0
	v_pk_add_f32 v[4:5], v[0:1], v[2:3] op_sel:[0,1] op_sel_hi:[1,0] neg_lo:[0,1] neg_hi:[0,1]
	v_pk_add_f32 v[0:1], v[0:1], v[2:3] op_sel:[0,1] op_sel_hi:[1,0]
	v_mov_b32_e32 v2, v4
	v_mov_b32_e32 v3, v1
	;; [unrolled: 1-line block ×3, first 2 shown]
	ds_write2_b64 v206, v[30:31], v[2:3] offset1:12
	ds_write_b64 v206, v[0:1] offset:192
	s_waitcnt lgkmcnt(0)
	; wave barrier
	s_waitcnt lgkmcnt(0)
	ds_read2_b64 v[2:5], v217 offset0:122 offset1:185
	ds_read2_b64 v[6:9], v234 offset0:118 offset1:181
	;; [unrolled: 1-line block ×3, first 2 shown]
	s_waitcnt lgkmcnt(2)
	v_pk_mul_f32 v[0:1], v[36:37], v[2:3]
	s_nop 0
	v_pk_fma_f32 v[24:25], v[180:181], v[2:3], v[0:1] op_sel:[0,0,1] op_sel_hi:[1,1,0]
	v_pk_fma_f32 v[0:1], v[180:181], v[2:3], v[0:1] op_sel:[0,0,1] op_sel_hi:[1,1,0] neg_lo:[0,0,1] neg_hi:[0,0,1]
	s_nop 0
	v_mov_b32_e32 v25, v1
	s_waitcnt lgkmcnt(1)
	v_pk_mul_f32 v[0:1], v[178:179], v[6:7]
	s_nop 0
	v_pk_fma_f32 v[26:27], v[38:39], v[6:7], v[0:1] op_sel:[0,0,1] op_sel_hi:[1,1,0]
	v_pk_fma_f32 v[0:1], v[38:39], v[6:7], v[0:1] op_sel:[0,0,1] op_sel_hi:[1,1,0] neg_lo:[0,0,1] neg_hi:[0,0,1]
	s_nop 0
	v_mov_b32_e32 v27, v1
	v_pk_add_f32 v[0:1], v[24:25], v[26:27]
	v_pk_add_f32 v[2:3], v[24:25], v[26:27] neg_lo:[0,1] neg_hi:[0,1]
	s_waitcnt lgkmcnt(0)
	v_pk_fma_f32 v[0:1], v[0:1], 0.5, v[10:11] op_sel_hi:[1,0,1] neg_lo:[1,0,0] neg_hi:[1,0,0]
	v_pk_mul_f32 v[2:3], v[2:3], s[8:9] op_sel_hi:[1,0]
	s_nop 0
	v_pk_add_f32 v[6:7], v[0:1], v[2:3] op_sel:[0,1] op_sel_hi:[1,0] neg_lo:[0,1] neg_hi:[0,1]
	v_pk_add_f32 v[2:3], v[0:1], v[2:3] op_sel:[0,1] op_sel_hi:[1,0]
	v_mov_b32_e32 v0, v6
	v_mov_b32_e32 v1, v3
	;; [unrolled: 1-line block ×3, first 2 shown]
	v_pk_mul_f32 v[6:7], v[32:33], v[4:5] op_sel:[0,1]
	s_nop 0
	v_pk_fma_f32 v[14:15], v[32:33], v[4:5], v[6:7] op_sel:[0,0,1] op_sel_hi:[1,0,0] neg_lo:[1,0,0] neg_hi:[1,0,0]
	v_pk_fma_f32 v[4:5], v[32:33], v[4:5], v[6:7] op_sel:[0,0,1] op_sel_hi:[1,0,0]
	v_pk_mul_f32 v[6:7], v[34:35], v[8:9] op_sel:[0,1]
	v_mov_b32_e32 v5, v15
	v_pk_fma_f32 v[14:15], v[34:35], v[8:9], v[6:7] op_sel:[0,0,1] op_sel_hi:[1,0,0] neg_lo:[1,0,0] neg_hi:[1,0,0]
	v_pk_fma_f32 v[6:7], v[34:35], v[8:9], v[6:7] op_sel:[0,0,1] op_sel_hi:[1,0,0]
	s_nop 0
	v_mov_b32_e32 v7, v15
	v_pk_add_f32 v[8:9], v[4:5], v[6:7]
	v_pk_add_f32 v[14:15], v[4:5], v[6:7] neg_lo:[0,1] neg_hi:[0,1]
	v_pk_fma_f32 v[8:9], v[8:9], 0.5, v[12:13] op_sel_hi:[1,0,1] neg_lo:[1,0,0] neg_hi:[1,0,0]
	v_pk_mul_f32 v[14:15], v[14:15], s[8:9] op_sel_hi:[1,0]
	v_pk_add_f32 v[4:5], v[12:13], v[4:5]
	v_pk_add_f32 v[72:73], v[8:9], v[14:15] op_sel:[0,1] op_sel_hi:[1,0]
	v_pk_add_f32 v[8:9], v[8:9], v[14:15] op_sel:[0,1] op_sel_hi:[1,0] neg_lo:[0,1] neg_hi:[0,1]
	ds_read2_b64 v[12:15], v213 offset0:124 offset1:187
	ds_read2_b64 v[16:19], v96 offset1:63
	ds_read2_b64 v[20:23], v214 offset0:120 offset1:183
	v_pk_add_f32 v[4:5], v[4:5], v[6:7]
	v_mov_b32_e32 v6, v8
	v_mov_b32_e32 v7, v73
	;; [unrolled: 1-line block ×3, first 2 shown]
	s_waitcnt lgkmcnt(2)
	v_pk_mul_f32 v[8:9], v[40:41], v[14:15]
	s_waitcnt lgkmcnt(0)
	v_pk_fma_f32 v[28:29], v[172:173], v[14:15], v[8:9] op_sel:[0,0,1] op_sel_hi:[1,1,0]
	v_pk_fma_f32 v[8:9], v[172:173], v[14:15], v[8:9] op_sel:[0,0,1] op_sel_hi:[1,1,0] neg_lo:[0,0,1] neg_hi:[0,0,1]
	; wave barrier
	s_nop 0
	v_mov_b32_e32 v29, v9
	v_pk_mul_f32 v[8:9], v[176:177], v[22:23]
	s_nop 0
	v_pk_fma_f32 v[14:15], v[42:43], v[22:23], v[8:9] op_sel:[0,0,1] op_sel_hi:[1,1,0]
	v_pk_fma_f32 v[8:9], v[42:43], v[22:23], v[8:9] op_sel:[0,0,1] op_sel_hi:[1,1,0] neg_lo:[0,0,1] neg_hi:[0,0,1]
	v_pk_mul_f32 v[22:23], v[44:45], v[12:13]
	v_mov_b32_e32 v15, v9
	v_pk_fma_f32 v[30:31], v[170:171], v[12:13], v[22:23] op_sel:[0,0,1] op_sel_hi:[1,1,0]
	v_pk_fma_f32 v[12:13], v[170:171], v[12:13], v[22:23] op_sel:[0,0,1] op_sel_hi:[1,1,0] neg_lo:[0,0,1] neg_hi:[0,0,1]
	v_pk_add_f32 v[8:9], v[18:19], v[28:29]
	v_mov_b32_e32 v31, v13
	v_pk_mul_f32 v[12:13], v[174:175], v[20:21]
	v_pk_add_f32 v[8:9], v[8:9], v[14:15]
	v_pk_fma_f32 v[22:23], v[46:47], v[20:21], v[12:13] op_sel:[0,0,1] op_sel_hi:[1,1,0]
	v_pk_fma_f32 v[12:13], v[46:47], v[20:21], v[12:13] op_sel:[0,0,1] op_sel_hi:[1,1,0] neg_lo:[0,0,1] neg_hi:[0,0,1]
	s_nop 0
	v_mov_b32_e32 v23, v13
	v_pk_add_f32 v[20:21], v[30:31], v[22:23]
	v_pk_add_f32 v[12:13], v[16:17], v[30:31]
	v_pk_fma_f32 v[16:17], v[20:21], 0.5, v[16:17] op_sel_hi:[1,0,1] neg_lo:[1,0,0] neg_hi:[1,0,0]
	v_pk_add_f32 v[20:21], v[30:31], v[22:23] neg_lo:[0,1] neg_hi:[0,1]
	v_pk_add_f32 v[12:13], v[12:13], v[22:23]
	v_pk_mul_f32 v[20:21], v[20:21], s[8:9] op_sel_hi:[1,0]
	s_nop 0
	v_pk_add_f32 v[22:23], v[16:17], v[20:21] op_sel:[0,1] op_sel_hi:[1,0] neg_lo:[0,1] neg_hi:[0,1]
	v_pk_add_f32 v[16:17], v[16:17], v[20:21] op_sel:[0,1] op_sel_hi:[1,0]
	v_mov_b32_e32 v20, v22
	v_mov_b32_e32 v21, v17
	ds_write2_b64 v115, v[12:13], v[20:21] offset1:36
	v_pk_add_f32 v[12:13], v[28:29], v[14:15]
	v_pk_add_f32 v[14:15], v[28:29], v[14:15] neg_lo:[0,1] neg_hi:[0,1]
	v_mov_b32_e32 v17, v23
	v_pk_fma_f32 v[12:13], v[12:13], 0.5, v[18:19] op_sel_hi:[1,0,1] neg_lo:[1,0,0] neg_hi:[1,0,0]
	v_pk_mul_f32 v[14:15], v[14:15], s[8:9] op_sel_hi:[1,0]
	ds_write_b64 v115, v[16:17] offset:576
	v_pk_add_f32 v[16:17], v[12:13], v[14:15] op_sel:[0,1] op_sel_hi:[1,0] neg_lo:[0,1] neg_hi:[0,1]
	v_pk_add_f32 v[12:13], v[12:13], v[14:15] op_sel:[0,1] op_sel_hi:[1,0]
	v_mov_b32_e32 v14, v16
	v_mov_b32_e32 v15, v13
	ds_write2_b64 v210, v[8:9], v[14:15] offset1:36
	v_pk_add_f32 v[8:9], v[10:11], v[24:25]
	v_mov_b32_e32 v13, v17
	v_pk_add_f32 v[8:9], v[8:9], v[26:27]
	ds_write_b64 v210, v[12:13] offset:576
	ds_write2_b64 v211, v[8:9], v[0:1] offset1:36
	ds_write_b64 v211, v[2:3] offset:576
	ds_write2_b64 v212, v[4:5], v[6:7] offset1:36
	ds_write_b64 v212, v[72:73] offset:576
	s_waitcnt lgkmcnt(0)
	; wave barrier
	s_waitcnt lgkmcnt(0)
	ds_read2_b64 v[8:11], v96 offset1:108
	ds_read2_b64 v[16:19], v213 offset0:88 offset1:196
	ds_read2_b64 v[12:15], v214 offset0:48 offset1:156
	ds_read_b64 v[20:21], v96 offset:5184
	s_and_saveexec_b64 s[8:9], s[2:3]
	s_xor_b64 s[2:3], exec, s[8:9]
	s_andn2_saveexec_b64 s[2:3], s[2:3]
	s_cbranch_execz .LBB0_9
; %bb.8:
	v_add_u32_e32 v4, 0xc00, v96
	ds_read2_b64 v[0:3], v96 offset0:63 offset1:171
	ds_read2_b64 v[72:75], v4 offset0:111 offset1:219
	ds_read_b64 v[22:23], v96 offset:5688
	v_add_u32_e32 v4, 0x800, v96
	ds_read2_b64 v[4:7], v4 offset0:23 offset1:131
	s_waitcnt lgkmcnt(2)
	v_mov_b32_e32 v76, v75
	s_waitcnt lgkmcnt(1)
	v_mov_b32_e32 v77, v23
	v_mov_b32_e32 v75, v22
.LBB0_9:
	s_or_b64 exec, exec, s[2:3]
	s_waitcnt lgkmcnt(3)
	v_pk_mul_f32 v[22:23], v[64:65], v[10:11] op_sel_hi:[1,0]
	v_mov_b32_e32 v24, v11
	s_waitcnt lgkmcnt(2)
	v_pk_mul_f32 v[34:35], v[68:69], v[18:19] op_sel:[0,1] op_sel_hi:[1,0]
	s_waitcnt lgkmcnt(1)
	v_pk_mul_f32 v[38:39], v[70:71], v[12:13] op_sel:[0,1] op_sel_hi:[1,0]
	v_pk_mul_f32 v[26:27], v[66:67], v[16:17] op_sel_hi:[1,0]
	v_mov_b32_e32 v28, v17
	v_mov_b32_e32 v32, v69
	;; [unrolled: 1-line block ×5, first 2 shown]
	v_pk_fma_f32 v[24:25], v[64:65], v[24:25], v[22:23] op_sel:[0,0,1] op_sel_hi:[1,1,0] neg_lo:[0,0,1] neg_hi:[0,0,1]
	v_pk_fma_f32 v[10:11], v[64:65], v[10:11], v[22:23] op_sel:[0,1,1] op_sel_hi:[1,1,0]
	v_pk_mul_f32 v[30:31], v[68:69], v[18:19]
	v_pk_mul_f32 v[32:33], v[32:33], v[18:19] op_sel:[0,1] op_sel_hi:[1,0]
	v_pk_fma_f32 v[18:19], v[68:69], v[18:19], v[34:35] op_sel:[0,1,0] op_sel_hi:[1,0,1] neg_lo:[0,0,1] neg_hi:[0,0,1]
	v_pk_mul_f32 v[34:35], v[70:71], v[12:13]
	v_pk_mul_f32 v[36:37], v[36:37], v[12:13] op_sel:[0,1] op_sel_hi:[1,0]
	v_pk_fma_f32 v[12:13], v[70:71], v[12:13], v[38:39] op_sel:[0,1,0] op_sel_hi:[1,0,1] neg_lo:[0,0,1] neg_hi:[0,0,1]
	v_pk_mul_f32 v[38:39], v[48:49], v[14:15] op_sel_hi:[1,0]
	v_mov_b32_e32 v40, v15
	v_mov_b32_e32 v25, v11
	v_pk_fma_f32 v[10:11], v[66:67], v[28:29], v[26:27] op_sel:[0,0,1] op_sel_hi:[1,1,0] neg_lo:[0,0,1] neg_hi:[0,0,1]
	v_pk_fma_f32 v[16:17], v[66:67], v[16:17], v[26:27] op_sel:[0,1,1] op_sel_hi:[1,1,0]
	s_waitcnt lgkmcnt(0)
	v_pk_mul_f32 v[42:43], v[50:51], v[20:21] op_sel_hi:[1,0]
	v_mov_b32_e32 v44, v21
	v_mov_b32_e32 v11, v17
	v_pk_fma_f32 v[16:17], v[48:49], v[40:41], v[38:39] op_sel:[0,0,1] op_sel_hi:[1,1,0] neg_lo:[0,0,1] neg_hi:[0,0,1]
	v_pk_fma_f32 v[14:15], v[48:49], v[14:15], v[38:39] op_sel:[0,1,1] op_sel_hi:[1,1,0]
	v_pk_fma_f32 v[20:21], v[50:51], v[20:21], v[42:43] op_sel:[0,1,1] op_sel_hi:[1,1,0]
	v_mov_b32_e32 v17, v15
	v_pk_fma_f32 v[14:15], v[50:51], v[44:45], v[42:43] op_sel:[0,0,1] op_sel_hi:[1,1,0] neg_lo:[0,0,1] neg_hi:[0,0,1]
	v_mov_b32_e32 v35, v24
	v_mov_b32_e32 v15, v21
	v_mov_b32_e32 v37, v14
	v_mov_b32_e32 v31, v10
	v_mov_b32_e32 v33, v16
	v_pk_add_f32 v[20:21], v[24:25], v[14:15]
	v_pk_add_f32 v[22:23], v[24:25], v[14:15] neg_lo:[0,1] neg_hi:[0,1]
	v_pk_add_f32 v[26:27], v[10:11], v[16:17]
	v_pk_add_f32 v[28:29], v[10:11], v[16:17] neg_lo:[0,1] neg_hi:[0,1]
	v_pk_add_f32 v[14:15], v[34:35], v[36:37]
	v_pk_add_f32 v[10:11], v[30:31], v[32:33]
	v_mov_b32_e32 v13, v14
	v_mov_b32_e32 v19, v10
	v_pk_add_f32 v[16:17], v[12:13], v[18:19] neg_lo:[0,1] neg_hi:[0,1]
	v_mov_b32_e32 v34, v27
	v_mov_b32_e32 v35, v18
	;; [unrolled: 1-line block ×4, first 2 shown]
	v_pk_add_f32 v[12:13], v[34:35], v[18:19]
	v_pk_add_f32 v[18:19], v[10:11], v[14:15]
	v_mov_b32_e32 v24, v16
	v_mov_b32_e32 v25, v23
	;; [unrolled: 1-line block ×4, first 2 shown]
	s_mov_b32 s8, 0x3f08b237
	v_mov_b32_e32 v14, v18
	v_mov_b32_e32 v35, v13
	s_mov_b32 s20, 0x3d64c772
	v_pk_add_f32 v[24:25], v[24:25], v[30:31] neg_lo:[0,1] neg_hi:[0,1]
	s_mov_b32 s9, 0xbeae86e6
	v_mov_b32_e32 v30, v22
	v_mov_b32_e32 v32, v16
	;; [unrolled: 1-line block ×3, first 2 shown]
	v_pk_add_f32 v[34:35], v[14:15], v[34:35] neg_lo:[0,1] neg_hi:[0,1]
	v_mov_b32_e32 v36, v21
	v_mov_b32_e32 v37, v13
	;; [unrolled: 1-line block ×3, first 2 shown]
	v_pk_add_f32 v[12:13], v[12:13], v[18:19]
	s_mov_b32 s21, 0x3f4a47b2
	v_pk_mul_f32 v[24:25], v[24:25], s[8:9]
	v_pk_add_f32 v[30:31], v[30:31], v[32:33] neg_lo:[0,1] neg_hi:[0,1]
	s_mov_b32 s16, s9
	s_mov_b32 s17, s8
	v_pk_add_f32 v[16:17], v[16:17], v[28:29]
	v_pk_add_f32 v[36:37], v[36:37], v[10:11] neg_lo:[0,1] neg_hi:[0,1]
	v_pk_add_f32 v[8:9], v[8:9], v[12:13]
	s_mov_b32 s18, 0xbf955555
	v_pk_mul_f32 v[18:19], v[34:35], s[20:21]
	s_mov_b32 s22, s21
	s_mov_b32 s23, s20
	v_pk_mul_f32 v[32:33], v[30:31], s[16:17]
	v_pk_add_f32 v[16:17], v[16:17], v[22:23]
	s_mov_b32 s2, 0xbee1c552
	v_pk_mul_f32 v[34:35], v[36:37], s[22:23]
	v_pk_fma_f32 v[12:13], v[12:13], s[18:19], v[8:9] op_sel_hi:[1,0,1]
	v_pk_fma_f32 v[36:37], v[36:37], s[22:23], v[18:19]
	v_pk_fma_f32 v[30:31], v[30:31], s[16:17], v[24:25]
	v_pk_add_f32 v[36:37], v[36:37], v[12:13]
	v_pk_fma_f32 v[30:31], v[16:17], s[2:3], v[30:31] op_sel_hi:[1,0,1]
	v_mov_b32_e32 v10, v27
	v_pk_add_f32 v[38:39], v[36:37], v[30:31]
	v_pk_add_f32 v[30:31], v[36:37], v[30:31] neg_lo:[0,1] neg_hi:[0,1]
	v_mov_b32_e32 v36, v38
	v_mov_b32_e32 v37, v31
	;; [unrolled: 1-line block ×3, first 2 shown]
	ds_write2_b64 v96, v[8:9], v[36:37] offset1:108
	v_pk_add_f32 v[8:9], v[28:29], v[22:23] neg_lo:[0,1] neg_hi:[0,1]
	s_mov_b32 s10, 0xbf5ff5aa
	v_pk_add_f32 v[10:11], v[10:11], v[14:15] neg_lo:[0,1] neg_hi:[0,1]
	s_mov_b32 s14, 0x3f3bfb3b
	v_mov_b32_e32 v14, v34
	v_mov_b32_e32 v15, v19
	;; [unrolled: 1-line block ×6, first 2 shown]
	v_pk_fma_f32 v[14:15], v[10:11], s[14:15], v[14:15] op_sel_hi:[1,0,1] neg_lo:[1,0,1] neg_hi:[1,0,1]
	v_pk_fma_f32 v[20:21], v[8:9], s[10:11], v[20:21] op_sel_hi:[1,0,1] neg_lo:[1,0,1] neg_hi:[1,0,1]
	v_pk_fma_f32 v[10:11], v[10:11], s[14:15], v[18:19] op_sel_hi:[1,0,1] neg_lo:[0,0,1] neg_hi:[0,0,1]
	v_pk_fma_f32 v[8:9], v[8:9], s[10:11], v[24:25] op_sel_hi:[1,0,1] neg_lo:[0,0,1] neg_hi:[0,0,1]
	v_pk_add_f32 v[14:15], v[14:15], v[12:13]
	v_pk_fma_f32 v[20:21], v[16:17], s[2:3], v[20:21] op_sel_hi:[1,0,1]
	v_pk_add_f32 v[10:11], v[10:11], v[12:13]
	v_pk_fma_f32 v[8:9], v[16:17], s[2:3], v[8:9] op_sel_hi:[1,0,1]
	v_pk_add_f32 v[22:23], v[14:15], v[20:21]
	v_pk_add_f32 v[14:15], v[14:15], v[20:21] neg_lo:[0,1] neg_hi:[0,1]
	v_pk_add_f32 v[12:13], v[10:11], v[8:9] neg_lo:[0,1] neg_hi:[0,1]
	v_pk_add_f32 v[10:11], v[10:11], v[8:9]
	v_mov_b32_e32 v20, v22
	v_mov_b32_e32 v21, v15
	;; [unrolled: 1-line block ×4, first 2 shown]
	v_add_u32_e32 v8, 0x400, v96
	v_mov_b32_e32 v11, v13
	v_mov_b32_e32 v15, v23
	v_add_u32_e32 v9, 0xc00, v96
	v_mov_b32_e32 v31, v39
	ds_write2_b64 v8, v[20:21], v[16:17] offset0:88 offset1:196
	ds_write2_b64 v9, v[10:11], v[14:15] offset0:48 offset1:156
	ds_write_b64 v96, v[30:31] offset:5184
	s_and_saveexec_b64 s[24:25], s[0:1]
	s_cbranch_execz .LBB0_11
; %bb.10:
	v_mov_b32_e32 v10, v61
	v_mov_b32_e32 v11, v60
	v_pk_mul_f32 v[30:31], v[10:11], v[6:7]
	v_mov_b32_e32 v12, v63
	v_mov_b32_e32 v13, v62
	;; [unrolled: 1-line block ×4, first 2 shown]
	v_pk_mul_f32 v[22:23], v[60:61], v[6:7]
	v_pk_mul_f32 v[24:25], v[10:11], v[24:25]
	v_pk_fma_f32 v[6:7], v[10:11], v[6:7], v[30:31] neg_lo:[1,0,0] neg_hi:[1,0,0]
	v_pk_mul_f32 v[10:11], v[12:13], v[72:73]
	v_pk_mul_f32 v[16:17], v[58:59], v[74:75] op_sel:[0,1]
	v_mov_b32_e32 v20, v73
	v_mov_b32_e32 v10, v11
	v_pk_mul_f32 v[14:15], v[52:53], v[2:3] op_sel_hi:[1,0]
	v_mov_b32_e32 v2, v3
	v_pk_mul_f32 v[20:21], v[12:13], v[20:21]
	v_pk_fma_f32 v[10:11], v[12:13], v[72:73], v[10:11] neg_lo:[1,0,0] neg_hi:[1,0,0]
	v_pk_fma_f32 v[12:13], v[58:59], v[76:77], v[16:17] op_sel:[0,1,1] op_sel_hi:[1,1,0] neg_lo:[0,0,1] neg_hi:[0,0,1]
	v_pk_fma_f32 v[16:17], v[58:59], v[76:77], v[16:17] op_sel:[0,1,1] op_sel_hi:[1,1,0]
	v_pk_mul_f32 v[28:29], v[56:57], v[74:75] op_sel_hi:[1,0]
	v_mov_b32_e32 v13, v17
	v_pk_fma_f32 v[16:17], v[52:53], v[2:3], v[14:15] op_sel:[0,0,1] op_sel_hi:[1,0,0] neg_lo:[0,0,1] neg_hi:[0,0,1]
	v_pk_fma_f32 v[2:3], v[52:53], v[2:3], v[14:15] op_sel:[0,0,1] op_sel_hi:[1,0,0]
	v_pk_mul_f32 v[26:27], v[54:55], v[4:5] op_sel_hi:[1,0]
	v_mov_b32_e32 v17, v3
	v_pk_fma_f32 v[2:3], v[56:57], v[76:77], v[28:29] op_sel:[0,0,1] op_sel_hi:[1,1,0] neg_lo:[0,0,1] neg_hi:[0,0,1]
	v_pk_fma_f32 v[14:15], v[56:57], v[76:77], v[28:29] op_sel:[0,0,1] op_sel_hi:[1,0,0]
	v_pk_mul_f32 v[18:19], v[62:63], v[72:73]
	v_mov_b32_e32 v3, v15
	v_pk_fma_f32 v[14:15], v[54:55], v[4:5], v[26:27] op_sel:[0,1,1] op_sel_hi:[1,1,0] neg_lo:[0,0,1] neg_hi:[0,0,1]
	v_pk_fma_f32 v[4:5], v[54:55], v[4:5], v[26:27] op_sel:[0,1,1] op_sel_hi:[1,1,0]
	v_mov_b32_e32 v23, v12
	v_mov_b32_e32 v15, v5
	;; [unrolled: 1-line block ×5, first 2 shown]
	v_pk_add_f32 v[4:5], v[12:13], v[16:17]
	v_pk_add_f32 v[26:27], v[2:3], v[14:15]
	v_pk_add_f32 v[28:29], v[16:17], v[12:13] neg_lo:[0,1] neg_hi:[0,1]
	v_pk_add_f32 v[30:31], v[14:15], v[2:3] neg_lo:[0,1] neg_hi:[0,1]
	v_pk_add_f32 v[12:13], v[22:23], v[24:25]
	v_pk_add_f32 v[2:3], v[18:19], v[20:21]
	v_mov_b32_e32 v7, v12
	v_mov_b32_e32 v11, v2
	v_pk_add_f32 v[14:15], v[10:11], v[6:7] neg_lo:[0,1] neg_hi:[0,1]
	v_mov_b32_e32 v23, v29
	v_mov_b32_e32 v18, v14
	v_pk_add_f32 v[20:21], v[14:15], v[30:31]
	v_mov_b32_e32 v22, v14
	v_mov_b32_e32 v14, v30
	;; [unrolled: 1-line block ×3, first 2 shown]
	v_pk_add_f32 v[14:15], v[22:23], v[14:15] neg_lo:[0,1] neg_hi:[0,1]
	v_mov_b32_e32 v22, v27
	v_mov_b32_e32 v23, v10
	;; [unrolled: 1-line block ×4, first 2 shown]
	v_pk_add_f32 v[6:7], v[22:23], v[10:11]
	v_pk_add_f32 v[10:11], v[2:3], v[12:13]
	v_mov_b32_e32 v16, v28
	v_pk_add_f32 v[22:23], v[6:7], v[10:11]
	v_mov_b32_e32 v6, v5
	v_mov_b32_e32 v11, v3
	v_pk_add_f32 v[24:25], v[6:7], v[10:11] neg_lo:[0,1] neg_hi:[0,1]
	v_mov_b32_e32 v11, v13
	v_mov_b32_e32 v6, v27
	;; [unrolled: 1-line block ×3, first 2 shown]
	v_pk_add_f32 v[6:7], v[10:11], v[6:7] neg_lo:[0,1] neg_hi:[0,1]
	v_pk_add_f32 v[16:17], v[16:17], v[18:19] neg_lo:[0,1] neg_hi:[0,1]
	v_pk_mul_f32 v[14:15], v[14:15], s[8:9]
	v_pk_add_f32 v[0:1], v[0:1], v[22:23]
	v_pk_mul_f32 v[6:7], v[6:7], s[20:21]
	v_pk_mul_f32 v[18:19], v[16:17], s[16:17]
	v_pk_add_f32 v[20:21], v[20:21], v[28:29]
	v_pk_fma_f32 v[16:17], v[16:17], s[16:17], v[14:15]
	v_pk_fma_f32 v[10:11], v[24:25], s[22:23], v[6:7]
	v_pk_fma_f32 v[22:23], v[22:23], s[18:19], v[0:1] op_sel_hi:[1,0,1]
	v_pk_fma_f32 v[16:17], v[20:21], s[2:3], v[16:17] op_sel_hi:[1,0,1]
	v_pk_add_f32 v[10:11], v[10:11], v[22:23]
	v_pk_mul_f32 v[32:33], v[24:25], s[22:23]
	v_pk_add_f32 v[24:25], v[10:11], v[16:17]
	v_pk_add_f32 v[10:11], v[10:11], v[16:17] neg_lo:[0,1] neg_hi:[0,1]
	v_mov_b32_e32 v16, v24
	v_mov_b32_e32 v17, v11
	v_mov_b32_e32 v2, v27
	v_mov_b32_e32 v12, v5
	ds_write2_b64 v96, v[0:1], v[16:17] offset0:63 offset1:171
	v_pk_add_f32 v[0:1], v[30:31], v[28:29] neg_lo:[0,1] neg_hi:[0,1]
	v_mov_b32_e32 v16, v18
	v_mov_b32_e32 v17, v15
	v_pk_add_f32 v[2:3], v[2:3], v[12:13] neg_lo:[0,1] neg_hi:[0,1]
	v_mov_b32_e32 v4, v32
	v_mov_b32_e32 v5, v7
	;; [unrolled: 1-line block ×4, first 2 shown]
	v_pk_fma_f32 v[16:17], v[0:1], s[10:11], v[16:17] op_sel_hi:[1,0,1] neg_lo:[1,0,1] neg_hi:[1,0,1]
	v_pk_fma_f32 v[4:5], v[2:3], s[14:15], v[4:5] op_sel_hi:[1,0,1] neg_lo:[1,0,1] neg_hi:[1,0,1]
	;; [unrolled: 1-line block ×4, first 2 shown]
	v_pk_fma_f32 v[16:17], v[20:21], s[2:3], v[16:17] op_sel_hi:[1,0,1]
	v_pk_add_f32 v[4:5], v[4:5], v[22:23]
	v_pk_fma_f32 v[0:1], v[20:21], s[2:3], v[0:1] op_sel_hi:[1,0,1]
	v_pk_add_f32 v[2:3], v[2:3], v[22:23]
	v_pk_add_f32 v[12:13], v[4:5], v[16:17]
	v_pk_add_f32 v[4:5], v[4:5], v[16:17] neg_lo:[0,1] neg_hi:[0,1]
	v_pk_add_f32 v[6:7], v[2:3], v[0:1] neg_lo:[0,1] neg_hi:[0,1]
	v_pk_add_f32 v[0:1], v[2:3], v[0:1]
	v_mov_b32_e32 v16, v12
	v_mov_b32_e32 v17, v5
	;; [unrolled: 1-line block ×4, first 2 shown]
	v_add_u32_e32 v1, 0x800, v96
	ds_write2_b64 v1, v[16:17], v[2:3] offset0:23 offset1:131
	v_mov_b32_e32 v1, v7
	v_mov_b32_e32 v5, v13
	;; [unrolled: 1-line block ×3, first 2 shown]
	ds_write2_b64 v9, v[0:1], v[4:5] offset0:111 offset1:219
	ds_write_b64 v96, v[10:11] offset:5688
.LBB0_11:
	s_or_b64 exec, exec, s[24:25]
	s_waitcnt lgkmcnt(0)
	; wave barrier
	s_waitcnt lgkmcnt(0)
	ds_read2_b64 v[0:3], v96 offset1:63
	v_mad_u64_u32 v[12:13], s[0:1], s6, v110, 0
	v_mov_b32_e32 v4, v13
	v_mad_u64_u32 v[4:5], s[0:1], s7, v110, v[4:5]
	v_mov_b32_e32 v13, v4
	s_waitcnt lgkmcnt(0)
	v_mul_f32_e32 v4, v125, v1
	v_fmac_f32_e32 v4, v124, v0
	v_mul_f32_e32 v0, v125, v0
	s_mov_b32 s0, 0x6b015ac0
	v_fma_f32 v0, v124, v1, -v0
	s_mov_b32 s1, 0x3f55ac05
	v_cvt_f64_f32_e32 v[0:1], v0
	v_cvt_f64_f32_e32 v[4:5], v4
	v_mul_f64 v[0:1], v[0:1], s[0:1]
	v_mul_f64 v[4:5], v[4:5], s[0:1]
	v_cvt_f32_f64_e32 v15, v[0:1]
	v_mad_u64_u32 v[0:1], s[2:3], s4, v114, 0
	v_cvt_f32_f64_e32 v14, v[4:5]
	v_mov_b32_e32 v4, v1
	v_add_u32_e32 v1, 0x800, v96
	v_mad_u64_u32 v[16:17], s[2:3], s5, v114, v[4:5]
	ds_read2_b64 v[4:7], v1 offset0:122 offset1:185
	v_mov_b32_e32 v10, s12
	v_mov_b32_e32 v11, s13
	;; [unrolled: 1-line block ×3, first 2 shown]
	v_lshl_add_u64 v[10:11], v[12:13], 3, v[10:11]
	v_lshl_add_u64 v[0:1], v[0:1], 3, v[10:11]
	s_waitcnt lgkmcnt(0)
	v_mul_f32_e32 v10, v123, v5
	v_fmac_f32_e32 v10, v122, v4
	v_mul_f32_e32 v4, v123, v4
	v_fma_f32 v4, v122, v5, -v4
	global_store_dwordx2 v[0:1], v[14:15], off
	v_cvt_f64_f32_e32 v[10:11], v10
	v_cvt_f64_f32_e32 v[4:5], v4
	v_mov_b32_e32 v14, 0xbd0
	v_mul_f64 v[10:11], v[10:11], s[0:1]
	v_mul_f64 v[4:5], v[4:5], s[0:1]
	v_mad_u64_u32 v[0:1], s[2:3], s4, v14, v[0:1]
	v_cvt_f32_f64_e32 v10, v[10:11]
	v_cvt_f32_f64_e32 v11, v[4:5]
	s_mul_i32 s2, s5, 0xbd0
	v_mul_f32_e32 v4, v119, v3
	v_add_u32_e32 v1, s2, v1
	v_fmac_f32_e32 v4, v118, v2
	v_mul_f32_e32 v2, v119, v2
	v_mov_b32_e32 v15, 0xfffff628
	global_store_dwordx2 v[0:1], v[10:11], off
	v_fma_f32 v2, v118, v3, -v2
	v_mad_u64_u32 v[10:11], s[6:7], s4, v15, v[0:1]
	v_mul_f32_e32 v0, v117, v7
	v_cvt_f64_f32_e32 v[4:5], v4
	v_cvt_f64_f32_e32 v[2:3], v2
	s_mul_i32 s3, s5, 0xfffff628
	v_fmac_f32_e32 v0, v116, v6
	v_mul_f64 v[4:5], v[4:5], s[0:1]
	v_mul_f64 v[2:3], v[2:3], s[0:1]
	s_sub_i32 s3, s3, s4
	v_cvt_f64_f32_e32 v[0:1], v0
	v_cvt_f32_f64_e32 v4, v[4:5]
	v_cvt_f32_f64_e32 v5, v[2:3]
	v_add_u32_e32 v11, s3, v11
	v_mul_f64 v[0:1], v[0:1], s[0:1]
	global_store_dwordx2 v[10:11], v[4:5], off
	v_cvt_f32_f64_e32 v4, v[0:1]
	v_mul_f32_e32 v0, v117, v6
	v_fma_f32 v0, v116, v7, -v0
	v_cvt_f64_f32_e32 v[0:1], v0
	v_mul_f64 v[0:1], v[0:1], s[0:1]
	v_cvt_f32_f64_e32 v5, v[0:1]
	ds_read2_b64 v[0:3], v96 offset0:126 offset1:189
	v_mad_u64_u32 v[10:11], s[6:7], s4, v14, v[10:11]
	v_add_u32_e32 v11, s2, v11
	global_store_dwordx2 v[10:11], v[4:5], off
	s_waitcnt lgkmcnt(0)
	v_mul_f32_e32 v4, v121, v1
	v_fmac_f32_e32 v4, v120, v0
	v_cvt_f64_f32_e32 v[4:5], v4
	v_mul_f64 v[4:5], v[4:5], s[0:1]
	v_cvt_f32_f64_e32 v12, v[4:5]
	ds_read2_b64 v[4:7], v9 offset0:120 offset1:183
	v_mul_f32_e32 v0, v121, v0
	v_fma_f32 v0, v120, v1, -v0
	v_cvt_f64_f32_e32 v[0:1], v0
	v_mul_f64 v[0:1], v[0:1], s[0:1]
	s_waitcnt lgkmcnt(0)
	v_mul_f32_e32 v9, v107, v5
	v_fmac_f32_e32 v9, v106, v4
	v_mul_f32_e32 v4, v107, v4
	v_fma_f32 v4, v106, v5, -v4
	v_cvt_f32_f64_e32 v13, v[0:1]
	v_mad_u64_u32 v[0:1], s[6:7], s4, v15, v[10:11]
	v_cvt_f64_f32_e32 v[10:11], v9
	v_cvt_f64_f32_e32 v[4:5], v4
	v_add_u32_e32 v1, s3, v1
	v_mul_f64 v[10:11], v[10:11], s[0:1]
	v_mul_f64 v[4:5], v[4:5], s[0:1]
	global_store_dwordx2 v[0:1], v[12:13], off
	v_cvt_f32_f64_e32 v10, v[10:11]
	v_cvt_f32_f64_e32 v11, v[4:5]
	v_mad_u64_u32 v[0:1], s[6:7], s4, v14, v[0:1]
	v_mul_f32_e32 v4, v109, v3
	v_add_u32_e32 v1, s2, v1
	v_fmac_f32_e32 v4, v108, v2
	v_mul_f32_e32 v2, v109, v2
	global_store_dwordx2 v[0:1], v[10:11], off
	v_fma_f32 v2, v108, v3, -v2
	v_mad_u64_u32 v[10:11], s[6:7], s4, v15, v[0:1]
	v_mul_f32_e32 v0, v113, v7
	v_cvt_f64_f32_e32 v[4:5], v4
	v_cvt_f64_f32_e32 v[2:3], v2
	v_fmac_f32_e32 v0, v112, v6
	v_mul_f64 v[4:5], v[4:5], s[0:1]
	v_mul_f64 v[2:3], v[2:3], s[0:1]
	v_cvt_f64_f32_e32 v[0:1], v0
	v_cvt_f32_f64_e32 v4, v[4:5]
	v_cvt_f32_f64_e32 v5, v[2:3]
	v_add_u32_e32 v11, s3, v11
	v_mul_f64 v[0:1], v[0:1], s[0:1]
	global_store_dwordx2 v[10:11], v[4:5], off
	v_cvt_f32_f64_e32 v4, v[0:1]
	v_mul_f32_e32 v0, v113, v6
	v_fma_f32 v0, v112, v7, -v0
	v_cvt_f64_f32_e32 v[0:1], v0
	v_mul_f64 v[0:1], v[0:1], s[0:1]
	v_cvt_f32_f64_e32 v5, v[0:1]
	ds_read2_b64 v[0:3], v8 offset0:124 offset1:187
	v_mad_u64_u32 v[8:9], s[6:7], s4, v14, v[10:11]
	v_add_u32_e32 v9, s2, v9
	global_store_dwordx2 v[8:9], v[4:5], off
	s_waitcnt lgkmcnt(0)
	v_mul_f32_e32 v4, v105, v1
	v_fmac_f32_e32 v4, v104, v0
	v_mul_f32_e32 v0, v105, v0
	v_fma_f32 v0, v104, v1, -v0
	v_cvt_f64_f32_e32 v[0:1], v0
	v_cvt_f64_f32_e32 v[4:5], v4
	v_mul_f64 v[0:1], v[0:1], s[0:1]
	v_mul_f64 v[4:5], v[4:5], s[0:1]
	v_cvt_f32_f64_e32 v11, v[0:1]
	v_add_u32_e32 v0, 0x1000, v96
	v_cvt_f32_f64_e32 v10, v[4:5]
	ds_read2_b64 v[4:7], v0 offset0:118 offset1:181
	v_mad_u64_u32 v[0:1], s[6:7], s4, v15, v[8:9]
	v_add_u32_e32 v1, s3, v1
	global_store_dwordx2 v[0:1], v[10:11], off
	s_waitcnt lgkmcnt(0)
	v_mul_f32_e32 v8, v103, v5
	v_fmac_f32_e32 v8, v102, v4
	v_mul_f32_e32 v4, v103, v4
	v_fma_f32 v4, v102, v5, -v4
	v_cvt_f64_f32_e32 v[8:9], v8
	v_cvt_f64_f32_e32 v[4:5], v4
	v_mul_f64 v[8:9], v[8:9], s[0:1]
	v_mul_f64 v[4:5], v[4:5], s[0:1]
	v_cvt_f32_f64_e32 v8, v[8:9]
	v_cvt_f32_f64_e32 v9, v[4:5]
	v_mul_f32_e32 v4, v101, v3
	v_fmac_f32_e32 v4, v100, v2
	v_mul_f32_e32 v2, v101, v2
	v_fma_f32 v2, v100, v3, -v2
	v_cvt_f64_f32_e32 v[4:5], v4
	v_cvt_f64_f32_e32 v[2:3], v2
	v_mul_f64 v[4:5], v[4:5], s[0:1]
	v_mul_f64 v[2:3], v[2:3], s[0:1]
	v_cvt_f32_f64_e32 v4, v[4:5]
	v_cvt_f32_f64_e32 v5, v[2:3]
	v_mul_f32_e32 v2, v99, v7
	v_fmac_f32_e32 v2, v98, v6
	v_mad_u64_u32 v[0:1], s[6:7], s4, v14, v[0:1]
	v_cvt_f64_f32_e32 v[2:3], v2
	v_add_u32_e32 v1, s2, v1
	v_mul_f64 v[2:3], v[2:3], s[0:1]
	global_store_dwordx2 v[0:1], v[8:9], off
	v_mad_u64_u32 v[0:1], s[6:7], s4, v15, v[0:1]
	v_cvt_f32_f64_e32 v2, v[2:3]
	v_mul_f32_e32 v3, v99, v6
	v_add_u32_e32 v1, s3, v1
	v_fma_f32 v3, v98, v7, -v3
	global_store_dwordx2 v[0:1], v[4:5], off
	v_cvt_f64_f32_e32 v[4:5], v3
	v_mul_f64 v[4:5], v[4:5], s[0:1]
	v_mad_u64_u32 v[0:1], s[0:1], s4, v14, v[0:1]
	v_cvt_f32_f64_e32 v3, v[4:5]
	v_add_u32_e32 v1, s2, v1
	global_store_dwordx2 v[0:1], v[2:3], off
.LBB0_12:
	s_endpgm
	.section	.rodata,"a",@progbits
	.p2align	6, 0x0
	.amdhsa_kernel bluestein_single_back_len756_dim1_sp_op_CI_CI
		.amdhsa_group_segment_fixed_size 6048
		.amdhsa_private_segment_fixed_size 0
		.amdhsa_kernarg_size 104
		.amdhsa_user_sgpr_count 2
		.amdhsa_user_sgpr_dispatch_ptr 0
		.amdhsa_user_sgpr_queue_ptr 0
		.amdhsa_user_sgpr_kernarg_segment_ptr 1
		.amdhsa_user_sgpr_dispatch_id 0
		.amdhsa_user_sgpr_kernarg_preload_length 0
		.amdhsa_user_sgpr_kernarg_preload_offset 0
		.amdhsa_user_sgpr_private_segment_size 0
		.amdhsa_uses_dynamic_stack 0
		.amdhsa_enable_private_segment 0
		.amdhsa_system_sgpr_workgroup_id_x 1
		.amdhsa_system_sgpr_workgroup_id_y 0
		.amdhsa_system_sgpr_workgroup_id_z 0
		.amdhsa_system_sgpr_workgroup_info 0
		.amdhsa_system_vgpr_workitem_id 0
		.amdhsa_next_free_vgpr 244
		.amdhsa_next_free_sgpr 26
		.amdhsa_accum_offset 244
		.amdhsa_reserve_vcc 1
		.amdhsa_float_round_mode_32 0
		.amdhsa_float_round_mode_16_64 0
		.amdhsa_float_denorm_mode_32 3
		.amdhsa_float_denorm_mode_16_64 3
		.amdhsa_dx10_clamp 1
		.amdhsa_ieee_mode 1
		.amdhsa_fp16_overflow 0
		.amdhsa_tg_split 0
		.amdhsa_exception_fp_ieee_invalid_op 0
		.amdhsa_exception_fp_denorm_src 0
		.amdhsa_exception_fp_ieee_div_zero 0
		.amdhsa_exception_fp_ieee_overflow 0
		.amdhsa_exception_fp_ieee_underflow 0
		.amdhsa_exception_fp_ieee_inexact 0
		.amdhsa_exception_int_div_zero 0
	.end_amdhsa_kernel
	.text
.Lfunc_end0:
	.size	bluestein_single_back_len756_dim1_sp_op_CI_CI, .Lfunc_end0-bluestein_single_back_len756_dim1_sp_op_CI_CI
                                        ; -- End function
	.section	.AMDGPU.csdata,"",@progbits
; Kernel info:
; codeLenInByte = 13032
; NumSgprs: 32
; NumVgprs: 244
; NumAgprs: 0
; TotalNumVgprs: 244
; ScratchSize: 0
; MemoryBound: 0
; FloatMode: 240
; IeeeMode: 1
; LDSByteSize: 6048 bytes/workgroup (compile time only)
; SGPRBlocks: 3
; VGPRBlocks: 30
; NumSGPRsForWavesPerEU: 32
; NumVGPRsForWavesPerEU: 244
; AccumOffset: 244
; Occupancy: 2
; WaveLimiterHint : 1
; COMPUTE_PGM_RSRC2:SCRATCH_EN: 0
; COMPUTE_PGM_RSRC2:USER_SGPR: 2
; COMPUTE_PGM_RSRC2:TRAP_HANDLER: 0
; COMPUTE_PGM_RSRC2:TGID_X_EN: 1
; COMPUTE_PGM_RSRC2:TGID_Y_EN: 0
; COMPUTE_PGM_RSRC2:TGID_Z_EN: 0
; COMPUTE_PGM_RSRC2:TIDIG_COMP_CNT: 0
; COMPUTE_PGM_RSRC3_GFX90A:ACCUM_OFFSET: 60
; COMPUTE_PGM_RSRC3_GFX90A:TG_SPLIT: 0
	.text
	.p2alignl 6, 3212836864
	.fill 256, 4, 3212836864
	.type	__hip_cuid_74fa821448224e32,@object ; @__hip_cuid_74fa821448224e32
	.section	.bss,"aw",@nobits
	.globl	__hip_cuid_74fa821448224e32
__hip_cuid_74fa821448224e32:
	.byte	0                               ; 0x0
	.size	__hip_cuid_74fa821448224e32, 1

	.ident	"AMD clang version 19.0.0git (https://github.com/RadeonOpenCompute/llvm-project roc-6.4.0 25133 c7fe45cf4b819c5991fe208aaa96edf142730f1d)"
	.section	".note.GNU-stack","",@progbits
	.addrsig
	.addrsig_sym __hip_cuid_74fa821448224e32
	.amdgpu_metadata
---
amdhsa.kernels:
  - .agpr_count:     0
    .args:
      - .actual_access:  read_only
        .address_space:  global
        .offset:         0
        .size:           8
        .value_kind:     global_buffer
      - .actual_access:  read_only
        .address_space:  global
        .offset:         8
        .size:           8
        .value_kind:     global_buffer
      - .actual_access:  read_only
        .address_space:  global
        .offset:         16
        .size:           8
        .value_kind:     global_buffer
      - .actual_access:  read_only
        .address_space:  global
        .offset:         24
        .size:           8
        .value_kind:     global_buffer
      - .actual_access:  read_only
        .address_space:  global
        .offset:         32
        .size:           8
        .value_kind:     global_buffer
      - .offset:         40
        .size:           8
        .value_kind:     by_value
      - .address_space:  global
        .offset:         48
        .size:           8
        .value_kind:     global_buffer
      - .address_space:  global
        .offset:         56
        .size:           8
        .value_kind:     global_buffer
      - .address_space:  global
        .offset:         64
        .size:           8
        .value_kind:     global_buffer
      - .address_space:  global
        .offset:         72
        .size:           8
        .value_kind:     global_buffer
      - .offset:         80
        .size:           4
        .value_kind:     by_value
      - .address_space:  global
        .offset:         88
        .size:           8
        .value_kind:     global_buffer
      - .address_space:  global
        .offset:         96
        .size:           8
        .value_kind:     global_buffer
    .group_segment_fixed_size: 6048
    .kernarg_segment_align: 8
    .kernarg_segment_size: 104
    .language:       OpenCL C
    .language_version:
      - 2
      - 0
    .max_flat_workgroup_size: 63
    .name:           bluestein_single_back_len756_dim1_sp_op_CI_CI
    .private_segment_fixed_size: 0
    .sgpr_count:     32
    .sgpr_spill_count: 0
    .symbol:         bluestein_single_back_len756_dim1_sp_op_CI_CI.kd
    .uniform_work_group_size: 1
    .uses_dynamic_stack: false
    .vgpr_count:     244
    .vgpr_spill_count: 0
    .wavefront_size: 64
amdhsa.target:   amdgcn-amd-amdhsa--gfx950
amdhsa.version:
  - 1
  - 2
...

	.end_amdgpu_metadata
